;; amdgpu-corpus repo=ROCm/rocFFT kind=compiled arch=gfx1030 opt=O3
	.text
	.amdgcn_target "amdgcn-amd-amdhsa--gfx1030"
	.amdhsa_code_object_version 6
	.protected	bluestein_single_back_len405_dim1_half_op_CI_CI ; -- Begin function bluestein_single_back_len405_dim1_half_op_CI_CI
	.globl	bluestein_single_back_len405_dim1_half_op_CI_CI
	.p2align	8
	.type	bluestein_single_back_len405_dim1_half_op_CI_CI,@function
bluestein_single_back_len405_dim1_half_op_CI_CI: ; @bluestein_single_back_len405_dim1_half_op_CI_CI
; %bb.0:
	s_load_dwordx4 s[16:19], s[4:5], 0x28
	v_mul_u32_u24_e32 v1, 0x97c, v0
	v_mov_b32_e32 v2, 0
	s_mov_b32 s0, exec_lo
	v_lshrrev_b32_e32 v12, 16, v1
	v_lshl_add_u32 v1, s6, 2, v12
	s_waitcnt lgkmcnt(0)
	v_cmpx_gt_u64_e64 s[16:17], v[1:2]
	s_cbranch_execz .LBB0_2
; %bb.1:
	s_clause 0x1
	s_load_dwordx4 s[0:3], s[4:5], 0x18
	s_load_dwordx4 s[8:11], s[4:5], 0x0
	v_mul_lo_u16 v2, v12, 27
	v_and_b32_e32 v12, 3, v12
	v_sub_nc_u16 v22, v0, v2
	v_and_b32_e32 v64, 0xffff, v22
	v_add_co_u32 v23, null, 0x6c, v64
	v_add_co_u32 v28, null, 0x51, v64
	s_waitcnt lgkmcnt(0)
	s_load_dwordx4 s[12:15], s[0:1], 0x0
	s_add_u32 s6, s8, 0x654
	s_addc_u32 s7, s9, 0
	v_and_b32_e32 v21, 0xff, v23
	v_add_co_u32 v24, null, v64, 54
	v_mul_lo_u16 v32, 0xcd, v21
	v_mul_u32_u24_e32 v29, 5, v24
	v_and_b32_e32 v31, 0xff, v24
	v_lshrrev_b16 v45, 10, v32
	v_mul_lo_u16 v33, 0xcd, v31
	v_lshrrev_b16 v46, 10, v33
	s_waitcnt lgkmcnt(0)
	v_mad_u64_u32 v[2:3], null, s14, v1, 0
	v_mad_u64_u32 v[4:5], null, s12, v64, 0
	s_mul_i32 s1, s13, 0x144
	s_mul_hi_u32 s14, s12, 0x144
	s_mul_i32 s0, s12, 0x144
	s_add_i32 s1, s14, s1
	v_mov_b32_e32 v0, v3
	v_mul_lo_u16 v33, v45, 5
	v_mov_b32_e32 v3, v5
	v_mad_u64_u32 v[5:6], null, s15, v1, v[0:1]
	v_mad_u64_u32 v[6:7], null, s13, v64, v[3:4]
	v_lshlrev_b32_e32 v0, 2, v64
	s_mulk_i32 s13, 0xfb5c
	v_sub_nc_u16 v66, v23, v33
	s_sub_i32 s13, s13, s12
	v_mov_b32_e32 v3, v5
	s_clause 0x1
	global_load_dword v55, v0, s[8:9]
	global_load_dword v56, v0, s[8:9] offset:324
	v_mov_b32_e32 v5, v6
	v_lshlrev_b64 v[2:3], 2, v[2:3]
	v_lshlrev_b64 v[4:5], 2, v[4:5]
	v_add_co_u32 v2, vcc_lo, s18, v2
	v_add_co_ci_u32_e32 v3, vcc_lo, s19, v3, vcc_lo
	v_add_co_u32 v2, vcc_lo, v2, v4
	v_add_co_ci_u32_e32 v3, vcc_lo, v3, v5, vcc_lo
	;; [unrolled: 2-line block ×3, first 2 shown]
	global_load_dword v3, v[2:3], off
	v_add_co_u32 v6, vcc_lo, v4, s0
	v_add_co_ci_u32_e32 v7, vcc_lo, s1, v5, vcc_lo
	global_load_dword v2, v[4:5], off
	v_add_co_u32 v8, vcc_lo, v6, s0
	v_add_co_ci_u32_e32 v9, vcc_lo, s1, v7, vcc_lo
	global_load_dword v4, v[6:7], off
	global_load_dword v57, v0, s[8:9] offset:648
	v_add_co_u32 v10, vcc_lo, v8, s0
	v_add_co_ci_u32_e32 v11, vcc_lo, s1, v9, vcc_lo
	global_load_dword v6, v[8:9], off
	global_load_dword v58, v0, s[8:9] offset:972
	global_load_dword v5, v[10:11], off
	global_load_dword v59, v0, s[8:9] offset:1296
	v_mad_u64_u32 v[13:14], null, 0xfffffb5c, s12, v[10:11]
	s_clause 0x1
	global_load_dword v60, v0, s[8:9] offset:108
	global_load_dword v61, v0, s[8:9] offset:432
	v_add_nc_u32_e32 v14, s13, v14
	v_add_co_u32 v8, vcc_lo, v13, s0
	v_add_co_ci_u32_e32 v9, vcc_lo, s1, v14, vcc_lo
	v_add_co_u32 v10, vcc_lo, v8, s0
	global_load_dword v7, v[13:14], off
	v_add_co_ci_u32_e32 v11, vcc_lo, s1, v9, vcc_lo
	v_add_co_u32 v13, vcc_lo, v10, s0
	global_load_dword v8, v[8:9], off
	;; [unrolled: 3-line block ×3, first 2 shown]
	global_load_dword v62, v0, s[8:9] offset:756
	v_add_co_ci_u32_e32 v16, vcc_lo, s1, v14, vcc_lo
	s_clause 0x1
	global_load_dword v54, v0, s[8:9] offset:1080
	global_load_dword v51, v0, s[8:9] offset:540
	global_load_dword v10, v[13:14], off
	s_clause 0x2
	global_load_dword v52, v0, s[8:9] offset:216
	global_load_dword v53, v0, s[8:9] offset:1404
	;; [unrolled: 1-line block ×3, first 2 shown]
	global_load_dword v17, v[15:16], off
	global_load_dword v49, v0, s[8:9] offset:1188
	v_mad_u64_u32 v[18:19], null, 0xfffffb5c, s12, v[15:16]
	v_add_nc_u32_e32 v19, s13, v19
	v_add_co_u32 v13, vcc_lo, v18, s0
	v_add_co_ci_u32_e32 v14, vcc_lo, s1, v19, vcc_lo
	global_load_dword v16, v[18:19], off
	v_add_co_u32 v18, vcc_lo, v13, s0
	v_add_co_ci_u32_e32 v19, vcc_lo, s1, v14, vcc_lo
	global_load_dword v15, v[13:14], off
	;; [unrolled: 3-line block ×3, first 2 shown]
	v_add_co_u32 v18, vcc_lo, v13, s0
	v_add_co_ci_u32_e32 v19, vcc_lo, s1, v14, vcc_lo
	global_load_dword v50, v0, s[8:9] offset:864
	global_load_dword v14, v[13:14], off
	global_load_dword v13, v[18:19], off
	v_mul_u32_u24_e32 v18, 0x195, v12
	v_add_co_u32 v26, s0, v64, 27
	v_and_b32_e32 v19, 0xff, v22
	s_load_dwordx4 s[28:31], s[2:3], 0x0
	v_lshlrev_b32_e32 v25, 2, v18
	v_mul_lo_u16 v18, v22, 5
	v_and_b32_e32 v30, 0xff, v26
	v_mul_lo_u16 v19, 0xcd, v19
	v_mul_u32_u24_e32 v27, 5, v26
	v_add_nc_u32_e32 v63, v25, v0
	v_and_b32_e32 v18, 0xffff, v18
	v_lshl_add_u32 v43, v29, 2, v25
	v_mul_lo_u16 v29, 0xcd, v30
	v_lshrrev_b16 v19, 10, v19
	v_add_nc_u32_e32 v65, 0x400, v63
	v_lshl_add_u32 v42, v18, 2, v25
	v_and_b32_e32 v18, 0xff, v28
	v_lshrrev_b16 v29, 10, v29
	v_lshl_add_u32 v44, v27, 2, v25
	v_mul_lo_u16 v27, v19, 5
	v_mov_b32_e32 v12, 3
	v_mul_lo_u16 v34, 0xcd, v18
	v_add_co_ci_u32_e64 v20, null, 0, 0, s0
	v_sub_nc_u16 v27, v22, v27
	v_lshlrev_b32_sdwa v33, v12, v66 dst_sel:DWORD dst_unused:UNUSED_PAD src0_sel:DWORD src1_sel:BYTE_0
	v_lshrrev_b16 v47, 10, v34
	v_cmp_gt_u16_e32 vcc_lo, 15, v22
	s_waitcnt lgkmcnt(0)
	s_mul_i32 s2, s29, 0x144
	v_lshlrev_b16 v38, 1, v27
	s_mul_hi_u32 s33, s28, 0x144
	s_mul_i32 s27, s28, 0x144
	s_add_i32 s33, s33, s2
	s_waitcnt vmcnt(27)
	v_lshrrev_b32_e32 v32, 16, v3
	v_mul_f16_sdwa v34, v55, v3 dst_sel:DWORD dst_unused:UNUSED_PAD src0_sel:WORD_1 src1_sel:DWORD
	v_mul_f16_sdwa v35, v55, v32 dst_sel:DWORD dst_unused:UNUSED_PAD src0_sel:WORD_1 src1_sel:DWORD
	s_waitcnt vmcnt(26)
	v_lshrrev_b32_e32 v36, 16, v2
	v_mul_f16_sdwa v37, v56, v2 dst_sel:DWORD dst_unused:UNUSED_PAD src0_sel:WORD_1 src1_sel:DWORD
	v_fma_f16 v32, v55, v32, -v34
	v_fmac_f16_e32 v35, v55, v3
	v_mul_f16_sdwa v3, v56, v36 dst_sel:DWORD dst_unused:UNUSED_PAD src0_sel:WORD_1 src1_sel:DWORD
	v_fma_f16 v34, v56, v36, -v37
	s_waitcnt vmcnt(25)
	v_lshrrev_b32_e32 v36, 16, v4
	s_waitcnt vmcnt(24)
	v_mul_f16_sdwa v37, v57, v4 dst_sel:DWORD dst_unused:UNUSED_PAD src0_sel:WORD_1 src1_sel:DWORD
	v_pack_b32_f16 v32, v35, v32
	v_fmac_f16_e32 v3, v56, v2
	s_waitcnt vmcnt(23)
	v_lshrrev_b32_e32 v2, 16, v6
	v_mul_f16_sdwa v35, v57, v36 dst_sel:DWORD dst_unused:UNUSED_PAD src0_sel:WORD_1 src1_sel:DWORD
	v_fma_f16 v36, v57, v36, -v37
	s_waitcnt vmcnt(22)
	v_mul_f16_sdwa v37, v58, v6 dst_sel:DWORD dst_unused:UNUSED_PAD src0_sel:WORD_1 src1_sel:DWORD
	v_pack_b32_f16 v3, v3, v34
	v_mul_f16_sdwa v34, v58, v2 dst_sel:DWORD dst_unused:UNUSED_PAD src0_sel:WORD_1 src1_sel:DWORD
	s_waitcnt vmcnt(21)
	v_lshrrev_b32_e32 v39, 16, v5
	v_fmac_f16_e32 v35, v57, v4
	v_fma_f16 v2, v58, v2, -v37
	s_waitcnt vmcnt(20)
	v_mul_f16_sdwa v4, v59, v5 dst_sel:DWORD dst_unused:UNUSED_PAD src0_sel:WORD_1 src1_sel:DWORD
	v_fmac_f16_e32 v34, v58, v6
	v_mul_f16_sdwa v6, v59, v39 dst_sel:DWORD dst_unused:UNUSED_PAD src0_sel:WORD_1 src1_sel:DWORD
	ds_write_b32 v63, v3 offset:324
	v_pack_b32_f16 v3, v35, v36
	v_fma_f16 v4, v59, v39, -v4
	v_pack_b32_f16 v2, v34, v2
	v_fmac_f16_e32 v6, v59, v5
	ds_write_b32 v63, v3 offset:648
	s_waitcnt vmcnt(17)
	v_lshrrev_b32_e32 v5, 16, v7
	v_mul_f16_sdwa v3, v60, v7 dst_sel:DWORD dst_unused:UNUSED_PAD src0_sel:WORD_1 src1_sel:DWORD
	ds_write_b32 v63, v2 offset:972
	v_pack_b32_f16 v2, v6, v4
	v_mul_f16_sdwa v4, v60, v5 dst_sel:DWORD dst_unused:UNUSED_PAD src0_sel:WORD_1 src1_sel:DWORD
	s_waitcnt vmcnt(16)
	v_lshrrev_b32_e32 v6, 16, v8
	v_fma_f16 v3, v60, v5, -v3
	v_mul_f16_sdwa v5, v61, v8 dst_sel:DWORD dst_unused:UNUSED_PAD src0_sel:WORD_1 src1_sel:DWORD
	ds_write_b32 v63, v2 offset:1296
	v_fmac_f16_e32 v4, v60, v7
	v_mul_f16_sdwa v2, v61, v6 dst_sel:DWORD dst_unused:UNUSED_PAD src0_sel:WORD_1 src1_sel:DWORD
	s_waitcnt vmcnt(15)
	v_lshrrev_b32_e32 v7, 16, v9
	s_waitcnt vmcnt(14)
	v_mul_f16_sdwa v34, v62, v9 dst_sel:DWORD dst_unused:UNUSED_PAD src0_sel:WORD_1 src1_sel:DWORD
	v_fma_f16 v5, v61, v6, -v5
	v_pack_b32_f16 v3, v4, v3
	v_fmac_f16_e32 v2, v61, v8
	v_mul_f16_sdwa v4, v62, v7 dst_sel:DWORD dst_unused:UNUSED_PAD src0_sel:WORD_1 src1_sel:DWORD
	v_fma_f16 v6, v62, v7, -v34
	s_waitcnt vmcnt(11)
	v_lshrrev_b32_e32 v7, 16, v10
	v_mul_f16_sdwa v8, v54, v10 dst_sel:DWORD dst_unused:UNUSED_PAD src0_sel:WORD_1 src1_sel:DWORD
	ds_write2_b32 v63, v32, v3 offset1:27
	v_pack_b32_f16 v2, v2, v5
	s_waitcnt vmcnt(7)
	v_lshrrev_b32_e32 v3, 16, v17
	v_mul_f16_sdwa v5, v54, v7 dst_sel:DWORD dst_unused:UNUSED_PAD src0_sel:WORD_1 src1_sel:DWORD
	v_fmac_f16_e32 v4, v62, v9
	v_mul_f16_sdwa v9, v53, v17 dst_sel:DWORD dst_unused:UNUSED_PAD src0_sel:WORD_1 src1_sel:DWORD
	v_fma_f16 v7, v54, v7, -v8
	v_mul_f16_sdwa v8, v53, v3 dst_sel:DWORD dst_unused:UNUSED_PAD src0_sel:WORD_1 src1_sel:DWORD
	v_fmac_f16_e32 v5, v54, v10
	v_pack_b32_f16 v4, v4, v6
	s_waitcnt vmcnt(5)
	v_lshrrev_b32_e32 v6, 16, v16
	v_fma_f16 v3, v53, v3, -v9
	v_fmac_f16_e32 v8, v53, v17
	v_pack_b32_f16 v5, v5, v7
	v_mul_f16_sdwa v7, v52, v16 dst_sel:DWORD dst_unused:UNUSED_PAD src0_sel:WORD_1 src1_sel:DWORD
	s_waitcnt vmcnt(4)
	v_lshrrev_b32_e32 v9, 16, v15
	v_mul_f16_sdwa v10, v52, v6 dst_sel:DWORD dst_unused:UNUSED_PAD src0_sel:WORD_1 src1_sel:DWORD
	v_pack_b32_f16 v3, v8, v3
	v_mul_f16_sdwa v8, v51, v15 dst_sel:DWORD dst_unused:UNUSED_PAD src0_sel:WORD_1 src1_sel:DWORD
	v_fma_f16 v6, v52, v6, -v7
	v_mul_f16_sdwa v7, v51, v9 dst_sel:DWORD dst_unused:UNUSED_PAD src0_sel:WORD_1 src1_sel:DWORD
	v_fmac_f16_e32 v10, v52, v16
	s_waitcnt vmcnt(3)
	v_lshrrev_b32_e32 v16, 16, v11
	v_fma_f16 v8, v51, v9, -v8
	s_waitcnt vmcnt(2)
	v_mul_f16_sdwa v9, v50, v11 dst_sel:DWORD dst_unused:UNUSED_PAD src0_sel:WORD_1 src1_sel:DWORD
	v_fmac_f16_e32 v7, v51, v15
	s_waitcnt vmcnt(1)
	v_lshrrev_b32_e32 v15, 16, v14
	s_waitcnt vmcnt(0)
	v_lshrrev_b32_e32 v32, 16, v13
	v_mul_f16_sdwa v17, v50, v16 dst_sel:DWORD dst_unused:UNUSED_PAD src0_sel:WORD_1 src1_sel:DWORD
	v_fma_f16 v9, v50, v16, -v9
	v_mul_f16_sdwa v16, v49, v14 dst_sel:DWORD dst_unused:UNUSED_PAD src0_sel:WORD_1 src1_sel:DWORD
	v_mul_f16_sdwa v34, v49, v15 dst_sel:DWORD dst_unused:UNUSED_PAD src0_sel:WORD_1 src1_sel:DWORD
	;; [unrolled: 1-line block ×4, first 2 shown]
	v_fmac_f16_e32 v17, v50, v11
	v_fma_f16 v11, v49, v15, -v16
	v_fmac_f16_e32 v34, v49, v14
	v_fma_f16 v14, v48, v32, -v35
	v_fmac_f16_e32 v36, v48, v13
	v_pack_b32_f16 v6, v10, v6
	v_mul_lo_u16 v13, v29, 5
	v_mul_lo_u16 v15, v46, 5
	v_pack_b32_f16 v7, v7, v8
	v_pack_b32_f16 v8, v17, v9
	;; [unrolled: 1-line block ×4, first 2 shown]
	ds_write_b32 v63, v6 offset:216
	ds_write2_b32 v63, v2, v7 offset0:108 offset1:135
	ds_write2_b32 v63, v4, v8 offset0:189 offset1:216
	;; [unrolled: 1-line block ×4, first 2 shown]
	s_waitcnt lgkmcnt(0)
	s_barrier
	buffer_gl0_inv
	ds_read2_b32 v[2:3], v63 offset1:27
	ds_read2_b32 v[4:5], v63 offset0:108 offset1:135
	ds_read2_b32 v[6:7], v63 offset0:162 offset1:189
	;; [unrolled: 1-line block ×4, first 2 shown]
	v_sub_nc_u16 v67, v26, v13
	ds_read2_b32 v[13:14], v63 offset0:54 offset1:81
	v_sub_nc_u16 v68, v24, v15
	ds_read2_b32 v[15:16], v63 offset0:216 offset1:243
	ds_read_b32 v35, v63 offset:1512
	v_and_b32_e32 v32, 0xfe, v38
	v_mul_lo_u16 v17, v47, 5
	v_lshlrev_b32_sdwa v34, v12, v67 dst_sel:DWORD dst_unused:UNUSED_PAD src0_sel:DWORD src1_sel:BYTE_0
	s_waitcnt lgkmcnt(0)
	s_barrier
	v_lshlrev_b32_e32 v32, 2, v32
	v_sub_nc_u16 v17, v28, v17
	buffer_gl0_inv
	v_pk_add_f16 v36, v3, v4
	v_pk_add_f16 v40, v4, v7 neg_lo:[0,1] neg_hi:[0,1]
	v_pk_add_f16 v37, v7, v8
	v_pk_add_f16 v38, v4, v11 neg_lo:[0,1] neg_hi:[0,1]
	v_pk_add_f16 v39, v7, v8 neg_lo:[0,1] neg_hi:[0,1]
	;; [unrolled: 1-line block ×3, first 2 shown]
	v_pk_add_f16 v69, v4, v11
	v_pk_add_f16 v71, v13, v5
	;; [unrolled: 1-line block ×4, first 2 shown]
	v_pk_add_f16 v74, v14, v10 neg_lo:[0,1] neg_hi:[0,1]
	v_pk_add_f16 v75, v6, v16 neg_lo:[0,1] neg_hi:[0,1]
	v_pk_add_f16 v76, v14, v10
	v_pk_add_f16 v4, v7, v4 neg_lo:[0,1] neg_hi:[0,1]
	v_pk_add_f16 v70, v8, v11 neg_lo:[0,1] neg_hi:[0,1]
	v_pk_add_f16 v77, v14, v6 neg_lo:[0,1] neg_hi:[0,1]
	v_pk_add_f16 v78, v15, v9
	v_pk_add_f16 v79, v5, v35
	v_pk_add_f16 v14, v6, v14 neg_lo:[0,1] neg_hi:[0,1]
	v_pk_add_f16 v80, v10, v16 neg_lo:[0,1] neg_hi:[0,1]
	v_pk_add_f16 v81, v5, v35 neg_lo:[0,1] neg_hi:[0,1]
	v_pk_add_f16 v82, v5, v15 neg_lo:[0,1] neg_hi:[0,1]
	v_pk_add_f16 v5, v15, v5 neg_lo:[0,1] neg_hi:[0,1]
	v_pk_add_f16 v84, v15, v9 neg_lo:[0,1] neg_hi:[0,1]
	v_pk_fma_f16 v37, v37, 0.5, v3 op_sel_hi:[1,0,1] neg_lo:[1,0,0] neg_hi:[1,0,0]
	v_pk_fma_f16 v3, v69, 0.5, v3 op_sel_hi:[1,0,1] neg_lo:[1,0,0] neg_hi:[1,0,0]
	;; [unrolled: 1-line block ×3, first 2 shown]
	v_pk_add_f16 v7, v36, v7
	v_pk_add_f16 v6, v72, v6
	v_pk_add_f16 v15, v71, v15
	v_pk_add_f16 v40, v40, v41
	v_pk_mul_f16 v41, 0x3b9c, v38 op_sel_hi:[0,1]
	v_pk_mul_f16 v71, 0x38b4, v39 op_sel_hi:[0,1]
	;; [unrolled: 1-line block ×4, first 2 shown]
	v_pk_fma_f16 v2, v76, 0.5, v2 op_sel_hi:[1,0,1] neg_lo:[1,0,0] neg_hi:[1,0,0]
	v_pk_mul_f16 v76, 0x3b9c, v75 op_sel_hi:[0,1]
	v_pk_add_f16 v83, v16, v10 neg_lo:[0,1] neg_hi:[0,1]
	v_pk_add_f16 v85, v35, v9 neg_lo:[0,1] neg_hi:[0,1]
	;; [unrolled: 1-line block ×3, first 2 shown]
	v_pk_fma_f16 v36, v78, 0.5, v13 op_sel_hi:[1,0,1] neg_lo:[1,0,0] neg_hi:[1,0,0]
	v_pk_fma_f16 v13, v79, 0.5, v13 op_sel_hi:[1,0,1] neg_lo:[1,0,0] neg_hi:[1,0,0]
	v_pk_add_f16 v4, v4, v70
	v_pk_add_f16 v70, v77, v80
	v_pk_mul_f16 v38, 0x38b4, v38 op_sel_hi:[0,1]
	v_pk_mul_f16 v77, 0x3b9c, v81 op_sel_hi:[0,1]
	;; [unrolled: 1-line block ×4, first 2 shown]
	v_pk_add_f16 v6, v6, v16
	v_pk_add_f16 v7, v7, v8
	;; [unrolled: 1-line block ×3, first 2 shown]
	v_pk_add_f16 v9, v37, v41 op_sel:[0,1] op_sel_hi:[1,0]
	v_pk_add_f16 v15, v37, v41 op_sel:[0,1] op_sel_hi:[1,0] neg_lo:[0,1] neg_hi:[0,1]
	v_pk_add_f16 v16, v3, v39 op_sel:[0,1] op_sel_hi:[1,0] neg_lo:[0,1] neg_hi:[0,1]
	v_pk_add_f16 v3, v3, v39 op_sel:[0,1] op_sel_hi:[1,0]
	v_pk_add_f16 v37, v69, v72 op_sel:[0,1] op_sel_hi:[1,0]
	v_pk_add_f16 v39, v69, v72 op_sel:[0,1] op_sel_hi:[1,0] neg_lo:[0,1] neg_hi:[0,1]
	v_pk_mul_f16 v74, 0x38b4, v74 op_sel_hi:[0,1]
	v_pk_add_f16 v41, v2, v76 op_sel:[0,1] op_sel_hi:[1,0] neg_lo:[0,1] neg_hi:[0,1]
	v_pk_add_f16 v2, v2, v76 op_sel:[0,1] op_sel_hi:[1,0]
	v_pk_mul_f16 v79, 0x38b4, v84 op_sel_hi:[0,1]
	v_pk_mul_f16 v80, 0x38b4, v81 op_sel_hi:[0,1]
	v_pk_add_f16 v69, v36, v77 op_sel:[0,1] op_sel_hi:[1,0]
	v_pk_add_f16 v36, v36, v77 op_sel:[0,1] op_sel_hi:[1,0] neg_lo:[0,1] neg_hi:[0,1]
	v_pk_add_f16 v72, v13, v78 op_sel:[0,1] op_sel_hi:[1,0] neg_lo:[0,1] neg_hi:[0,1]
	v_pk_add_f16 v13, v13, v78 op_sel:[0,1] op_sel_hi:[1,0]
	v_pk_add_f16 v7, v7, v11
	v_pk_add_f16 v6, v6, v10
	v_pk_add_f16 v9, v9, v71 op_sel:[0,1] op_sel_hi:[1,0]
	v_pk_add_f16 v10, v15, v71 op_sel:[0,1] op_sel_hi:[1,0] neg_lo:[0,1] neg_hi:[0,1]
	v_pk_add_f16 v11, v16, v38 op_sel:[0,1] op_sel_hi:[1,0]
	v_pk_add_f16 v3, v3, v38 op_sel:[0,1] op_sel_hi:[1,0] neg_lo:[0,1] neg_hi:[0,1]
	;; [unrolled: 2-line block ×3, first 2 shown]
	v_pk_add_f16 v8, v8, v35
	v_pk_add_f16 v35, v41, v74 op_sel:[0,1] op_sel_hi:[1,0]
	v_pk_add_f16 v2, v2, v74 op_sel:[0,1] op_sel_hi:[1,0] neg_lo:[0,1] neg_hi:[0,1]
	v_pk_add_f16 v37, v69, v79 op_sel:[0,1] op_sel_hi:[1,0]
	v_pk_add_f16 v36, v36, v79 op_sel:[0,1] op_sel_hi:[1,0] neg_lo:[0,1] neg_hi:[0,1]
	;; [unrolled: 2-line block ×3, first 2 shown]
	v_bfi_b32 v39, 0xffff, v9, v10
	v_bfi_b32 v41, 0xffff, v11, v3
	;; [unrolled: 1-line block ×5, first 2 shown]
	v_pk_add_f16 v14, v14, v83
	v_bfi_b32 v11, 0xffff, v35, v2
	v_bfi_b32 v2, 0xffff, v2, v35
	;; [unrolled: 1-line block ×3, first 2 shown]
	v_pk_add_f16 v73, v82, v85
	v_pk_add_f16 v5, v5, v86
	v_bfi_b32 v16, 0xffff, v37, v36
	v_bfi_b32 v35, 0xffff, v38, v13
	;; [unrolled: 1-line block ×4, first 2 shown]
	v_pk_fma_f16 v38, 0x34f2, v4, v41 op_sel_hi:[0,1,1]
	v_pk_fma_f16 v3, 0x34f2, v4, v3 op_sel_hi:[0,1,1]
	;; [unrolled: 1-line block ×12, first 2 shown]
	ds_write2_b32 v42, v6, v9 offset1:1
	ds_write2_b32 v42, v10, v2 offset0:2 offset1:3
	ds_write_b32 v42, v11 offset:16
	ds_write2_b32 v44, v7, v37 offset1:1
	ds_write2_b32 v44, v38, v3 offset0:2 offset1:3
	ds_write_b32 v44, v4 offset:16
	ds_write2_b32 v43, v8, v14 offset1:1
	ds_write2_b32 v43, v15, v5 offset0:2 offset1:3
	ds_write_b32 v43, v13 offset:16
	s_waitcnt lgkmcnt(0)
	s_barrier
	buffer_gl0_inv
	global_load_dwordx2 v[40:41], v33, s[10:11]
	v_lshlrev_b32_sdwa v2, v12, v68 dst_sel:DWORD dst_unused:UNUSED_PAD src0_sel:DWORD src1_sel:BYTE_0
	s_clause 0x1
	global_load_dwordx2 v[32:33], v32, s[10:11]
	global_load_dwordx2 v[34:35], v34, s[10:11]
	v_lshlrev_b32_sdwa v3, v12, v17 dst_sel:DWORD dst_unused:UNUSED_PAD src0_sel:DWORD src1_sel:BYTE_0
	s_clause 0x1
	global_load_dwordx2 v[36:37], v2, s[10:11]
	global_load_dwordx2 v[38:39], v3, s[10:11]
	v_mul_lo_u16 v5, 0x89, v21
	v_mul_lo_u16 v6, 0x89, v30
	v_mov_b32_e32 v4, 15
	v_mul_lo_u16 v7, 0x89, v31
	v_mul_lo_u16 v8, 0x89, v18
	v_lshrrev_b16 v31, 11, v5
	v_lshrrev_b16 v69, 11, v6
	v_add_co_u32 v2, s0, v64, -15
	v_lshrrev_b16 v70, 11, v7
	v_lshrrev_b16 v71, 11, v8
	v_mul_lo_u16 v5, v29, 15
	v_mul_u32_u24_sdwa v6, v46, v4 dst_sel:DWORD dst_unused:UNUSED_PAD src0_sel:WORD_0 src1_sel:DWORD
	v_mul_u32_u24_sdwa v8, v47, v4 dst_sel:DWORD dst_unused:UNUSED_PAD src0_sel:WORD_0 src1_sel:DWORD
	;; [unrolled: 1-line block ×3, first 2 shown]
	v_mad_u16 v4, v19, 15, v27
	v_mul_lo_u16 v7, v31, 15
	v_mul_lo_u16 v9, v69, 15
	v_add_co_ci_u32_e64 v3, null, 0, -1, s0
	v_and_b32_e32 v16, 0xff, v4
	v_sub_nc_u16 v45, v23, v7
	v_sub_nc_u16 v46, v26, v9
	v_add_nc_u32_sdwa v27, v5, v67 dst_sel:DWORD dst_unused:UNUSED_PAD src0_sel:BYTE_0 src1_sel:BYTE_0
	v_add_nc_u32_sdwa v67, v6, v68 dst_sel:DWORD dst_unused:UNUSED_PAD src0_sel:DWORD src1_sel:BYTE_0
	ds_read2_b32 v[4:5], v63 offset0:216 offset1:243
	ds_read_b32 v68, v63 offset:1512
	ds_read2_b32 v[6:7], v63 offset0:108 offset1:135
	v_add_nc_u32_sdwa v72, v8, v17 dst_sel:DWORD dst_unused:UNUSED_PAD src0_sel:DWORD src1_sel:BYTE_0
	ds_read2_b32 v[8:9], v65 offset0:14 offset1:41
	v_cndmask_b32_e32 v13, v2, v64, vcc_lo
	v_cndmask_b32_e64 v14, v3, 0, vcc_lo
	v_mul_lo_u16 v11, v70, 15
	v_add_nc_u32_sdwa v66, v10, v66 dst_sel:DWORD dst_unused:UNUSED_PAD src0_sel:DWORD src1_sel:BYTE_0
	v_lshl_add_u32 v75, v16, 2, v25
	v_lshl_add_u32 v78, v27, 2, v25
	v_lshlrev_b64 v[2:3], 3, v[13:14]
	v_sub_nc_u16 v47, v24, v11
	ds_read2_b32 v[10:11], v63 offset0:162 offset1:189
	ds_read2_b32 v[14:15], v63 offset1:27
	ds_read2_b32 v[16:17], v65 offset0:68 offset1:95
	ds_read2_b32 v[29:30], v63 offset0:54 offset1:81
	v_lshl_add_u32 v77, v72, 2, v25
	v_lshl_add_u32 v76, v66, 2, v25
	;; [unrolled: 1-line block ×3, first 2 shown]
	v_mul_lo_u16 v19, v71, 15
	s_waitcnt lgkmcnt(7)
	v_lshrrev_b32_e32 v27, 16, v5
	s_waitcnt lgkmcnt(6)
	v_lshrrev_b32_e32 v66, 16, v68
	;; [unrolled: 2-line block ×3, first 2 shown]
	v_lshrrev_b32_e32 v86, 16, v4
	s_waitcnt lgkmcnt(4)
	v_lshrrev_b32_e32 v80, 16, v8
	v_lshrrev_b32_e32 v81, 16, v9
	;; [unrolled: 1-line block ×3, first 2 shown]
	s_waitcnt vmcnt(0) lgkmcnt(0)
	s_barrier
	buffer_gl0_inv
	v_add_co_u32 v2, vcc_lo, s10, v2
	v_lshrrev_b32_e32 v82, 16, v10
	v_lshrrev_b32_e32 v85, 16, v11
	;; [unrolled: 1-line block ×8, first 2 shown]
	v_add_co_ci_u32_e32 v3, vcc_lo, s11, v3, vcc_lo
	v_lshlrev_b32_sdwa v73, v12, v45 dst_sel:DWORD dst_unused:UNUSED_PAD src0_sel:DWORD src1_sel:BYTE_0
	v_lshlrev_b32_sdwa v74, v12, v46 dst_sel:DWORD dst_unused:UNUSED_PAD src0_sel:DWORD src1_sel:BYTE_0
	v_cmp_gt_u16_e32 vcc_lo, 18, v22
	v_mul_lo_u16 v18, 0x6d, v18
	v_mul_f16_sdwa v91, v27, v40 dst_sel:DWORD dst_unused:UNUSED_PAD src0_sel:DWORD src1_sel:WORD_1
	v_mul_f16_sdwa v93, v80, v33 dst_sel:DWORD dst_unused:UNUSED_PAD src0_sel:DWORD src1_sel:WORD_1
	;; [unrolled: 1-line block ×10, first 2 shown]
	v_fma_f16 v8, v8, v33, -v93
	v_mul_f16_sdwa v93, v72, v32 dst_sel:DWORD dst_unused:UNUSED_PAD src0_sel:DWORD src1_sel:WORD_1
	v_mul_f16_sdwa v102, v5, v40 dst_sel:DWORD dst_unused:UNUSED_PAD src0_sel:DWORD src1_sel:WORD_1
	;; [unrolled: 1-line block ×5, first 2 shown]
	v_fma_f16 v9, v9, v35, -v94
	v_mul_f16_sdwa v94, v87, v37 dst_sel:DWORD dst_unused:UNUSED_PAD src0_sel:DWORD src1_sel:WORD_1
	v_fma_f16 v10, v10, v34, -v97
	v_fma_f16 v11, v11, v36, -v98
	v_mul_f16_sdwa v98, v17, v39 dst_sel:DWORD dst_unused:UNUSED_PAD src0_sel:DWORD src1_sel:WORD_1
	v_fma_f16 v5, v5, v40, -v91
	v_mul_f16_sdwa v91, v16, v37 dst_sel:DWORD dst_unused:UNUSED_PAD src0_sel:DWORD src1_sel:WORD_1
	v_fma_f16 v68, v68, v41, -v92
	v_fmac_f16_e32 v105, v72, v32
	v_fmac_f16_e32 v96, v81, v35
	;; [unrolled: 1-line block ×3, first 2 shown]
	v_fma_f16 v7, v7, v32, -v93
	v_mul_f16_sdwa v100, v86, v38 dst_sel:DWORD dst_unused:UNUSED_PAD src0_sel:DWORD src1_sel:WORD_1
	v_mul_f16_sdwa v97, v88, v39 dst_sel:DWORD dst_unused:UNUSED_PAD src0_sel:DWORD src1_sel:WORD_1
	v_fmac_f16_e32 v95, v80, v33
	v_fmac_f16_e32 v102, v27, v40
	;; [unrolled: 1-line block ×3, first 2 shown]
	v_fma_f16 v16, v16, v37, -v94
	v_fmac_f16_e32 v103, v86, v38
	v_fmac_f16_e32 v98, v88, v39
	;; [unrolled: 1-line block ×4, first 2 shown]
	v_add_f16_e32 v27, v5, v68
	v_add_f16_e32 v81, v10, v9
	;; [unrolled: 1-line block ×5, first 2 shown]
	v_fma_f16 v4, v4, v38, -v100
	v_fma_f16 v17, v17, v39, -v97
	v_add_f16_e32 v88, v105, v95
	v_add_f16_e32 v94, v7, v8
	;; [unrolled: 1-line block ×6, first 2 shown]
	v_sub_f16_e32 v92, v105, v95
	v_sub_f16_e32 v7, v7, v8
	v_fmac_f16_e32 v6, -0.5, v27
	v_add_f16_e32 v27, v103, v98
	v_fmac_f16_e32 v15, -0.5, v81
	v_add_f16_e32 v81, v29, v11
	;; [unrolled: 2-line block ×3, first 2 shown]
	v_add_f16_e32 v86, v86, v95
	v_add_f16_e32 v95, v90, v101
	;; [unrolled: 1-line block ×4, first 2 shown]
	v_sub_f16_e32 v10, v10, v9
	v_sub_f16_e32 v97, v99, v96
	v_add_f16_e32 v99, v4, v17
	v_fmac_f16_e32 v84, -0.5, v88
	v_fma_f16 v14, -0.5, v94, v14
	v_add_f16_e32 v80, v67, v102
	v_fmac_f16_e32 v67, -0.5, v72
	v_sub_f16_e32 v5, v5, v68
	v_add_f16_e32 v100, v30, v4
	v_add_f16_e32 v72, v89, v103
	v_sub_f16_e32 v11, v11, v16
	v_sub_f16_e32 v101, v101, v91
	;; [unrolled: 1-line block ×3, first 2 shown]
	v_add_f16_e32 v9, v82, v9
	v_add_f16_e32 v82, v87, v96
	v_fmac_f16_e32 v89, -0.5, v27
	v_add_f16_e32 v16, v81, v16
	v_add_f16_e32 v27, v95, v91
	v_fmac_f16_e32 v90, -0.5, v93
	v_fma_f16 v29, -0.5, v85, v29
	v_sub_f16_e32 v103, v103, v98
	v_sub_f16_e32 v102, v102, v104
	v_fmac_f16_e32 v30, -0.5, v99
	v_fmamk_f16 v85, v10, 0xbaee, v83
	v_fmac_f16_e32 v83, 0x3aee, v10
	v_pack_b32_f16 v8, v8, v86
	v_fmamk_f16 v10, v92, 0x3aee, v14
	v_fmamk_f16 v86, v7, 0xbaee, v84
	v_fmac_f16_e32 v14, 0xbaee, v92
	v_fmac_f16_e32 v84, 0x3aee, v7
	v_fmamk_f16 v81, v5, 0xbaee, v67
	v_fmac_f16_e32 v67, 0x3aee, v5
	v_fmamk_f16 v5, v97, 0x3aee, v15
	v_fmac_f16_e32 v15, 0xbaee, v97
	v_add_f16_e32 v17, v100, v17
	v_add_f16_e32 v72, v72, v98
	v_add_f16_e32 v66, v66, v68
	v_add_f16_e32 v68, v80, v104
	v_pack_b32_f16 v7, v9, v82
	v_fmamk_f16 v82, v4, 0xbaee, v89
	v_fmac_f16_e32 v89, 0x3aee, v4
	v_pack_b32_f16 v4, v16, v27
	v_fmamk_f16 v16, v101, 0x3aee, v29
	v_fmamk_f16 v27, v11, 0xbaee, v90
	;; [unrolled: 1-line block ×3, first 2 shown]
	v_fmac_f16_e32 v6, 0xbaee, v102
	v_fmamk_f16 v9, v103, 0x3aee, v30
	v_fmac_f16_e32 v30, 0xbaee, v103
	v_fmac_f16_e32 v29, 0xbaee, v101
	;; [unrolled: 1-line block ×3, first 2 shown]
	v_pack_b32_f16 v10, v10, v86
	v_pack_b32_f16 v14, v14, v84
	;; [unrolled: 1-line block ×12, first 2 shown]
	ds_write2_b32 v75, v8, v10 offset1:5
	ds_write_b32 v75, v14 offset:40
	ds_write2_b32 v78, v7, v5 offset1:5
	ds_write_b32 v78, v15 offset:40
	;; [unrolled: 2-line block ×5, first 2 shown]
	v_sub_nc_u16 v17, v28, v19
	v_lshlrev_b32_sdwa v8, v12, v47 dst_sel:DWORD dst_unused:UNUSED_PAD src0_sel:DWORD src1_sel:BYTE_0
	s_waitcnt lgkmcnt(0)
	s_barrier
	buffer_gl0_inv
	v_lshlrev_b32_sdwa v10, v12, v17 dst_sel:DWORD dst_unused:UNUSED_PAD src0_sel:DWORD src1_sel:BYTE_0
	s_clause 0x4
	global_load_dwordx2 v[6:7], v73, s[10:11] offset:40
	global_load_dwordx2 v[2:3], v[2:3], off offset:40
	global_load_dwordx2 v[4:5], v74, s[10:11] offset:40
	global_load_dwordx2 v[8:9], v8, s[10:11] offset:40
	;; [unrolled: 1-line block ×3, first 2 shown]
	v_add_co_u32 v14, s0, 0xffffffee, v64
	v_add_co_ci_u32_e64 v15, null, 0, -1, s0
	v_cmp_lt_u16_e64 s0, 14, v22
	v_cndmask_b32_e32 v29, v14, v26, vcc_lo
	v_mul_lo_u16 v14, 0x6d, v21
	v_cndmask_b32_e32 v30, v15, v20, vcc_lo
	v_lshrrev_b16 v21, 8, v18
	v_cndmask_b32_e64 v16, 0, 45, s0
	v_mov_b32_e32 v15, 45
	v_lshrrev_b16 v20, 8, v14
	v_lshlrev_b32_e32 v27, 3, v64
	s_load_dwordx2 s[0:1], s[4:5], 0x38
	v_add_nc_u32_e32 v16, v13, v16
	v_lshlrev_b64 v[13:14], 3, v[29:30]
	v_sub_nc_u16 v30, v28, v21
	v_mul_u32_u24_sdwa v31, v31, v15 dst_sel:DWORD dst_unused:UNUSED_PAD src0_sel:WORD_0 src1_sel:DWORD
	v_mul_u32_u24_sdwa v67, v71, v15 dst_sel:DWORD dst_unused:UNUSED_PAD src0_sel:WORD_0 src1_sel:DWORD
	v_lshl_add_u32 v66, v16, 2, v25
	v_sub_nc_u16 v16, v23, v20
	v_add_co_u32 v18, vcc_lo, s10, v13
	v_add_co_ci_u32_e32 v19, vcc_lo, s11, v14, vcc_lo
	v_lshrrev_b16 v14, 1, v16
	v_lshrrev_b16 v16, 1, v30
	v_mul_u32_u24_sdwa v13, v69, v15 dst_sel:DWORD dst_unused:UNUSED_PAD src0_sel:WORD_0 src1_sel:DWORD
	v_mul_u32_u24_sdwa v30, v70, v15 dst_sel:DWORD dst_unused:UNUSED_PAD src0_sel:WORD_0 src1_sel:DWORD
	v_add_nc_u32_sdwa v73, v31, v45 dst_sel:DWORD dst_unused:UNUSED_PAD src0_sel:DWORD src1_sel:BYTE_0
	v_and_b32_e32 v14, 0x7f, v14
	v_and_b32_e32 v15, 0x7f, v16
	v_add_nc_u32_sdwa v68, v13, v46 dst_sel:DWORD dst_unused:UNUSED_PAD src0_sel:DWORD src1_sel:BYTE_0
	v_add_nc_u32_sdwa v47, v30, v47 dst_sel:DWORD dst_unused:UNUSED_PAD src0_sel:DWORD src1_sel:BYTE_0
	v_add_nc_u32_sdwa v17, v67, v17 dst_sel:DWORD dst_unused:UNUSED_PAD src0_sel:DWORD src1_sel:BYTE_0
	v_add_nc_u16 v20, v14, v20
	v_add_nc_u16 v45, v15, v21
	ds_read_b32 v80, v63 offset:1512
	ds_read2_b32 v[13:14], v63 offset0:216 offset1:243
	ds_read2_b32 v[15:16], v63 offset0:108 offset1:135
	;; [unrolled: 1-line block ×3, first 2 shown]
	ds_read2_b32 v[71:72], v63 offset1:27
	v_lshrrev_b16 v46, 5, v20
	ds_read2_b32 v[20:21], v65 offset0:14 offset1:41
	v_lshrrev_b16 v82, 5, v45
	v_lshl_add_u32 v67, v68, 2, v25
	v_lshl_add_u32 v70, v47, 2, v25
	v_mul_lo_u16 v69, v46, 45
	ds_read2_b32 v[45:46], v65 offset0:68 offset1:95
	v_mul_lo_u16 v74, v82, 45
	v_lshl_add_u32 v68, v73, 2, v25
	v_cmp_lt_u16_e32 vcc_lo, 17, v22
	v_sub_nc_u16 v81, v23, v69
	v_lshl_add_u32 v69, v17, 2, v25
	v_sub_nc_u16 v47, v28, v74
	ds_read2_b32 v[73:74], v63 offset0:54 offset1:81
	s_waitcnt vmcnt(0) lgkmcnt(0)
	v_lshrrev_b32_e32 v17, 16, v80
	v_and_b32_e32 v88, 0xff, v81
	v_lshrrev_b32_e32 v81, 16, v14
	v_lshrrev_b32_e32 v87, 16, v30
	;; [unrolled: 1-line block ×12, first 2 shown]
	s_barrier
	buffer_gl0_inv
	v_cndmask_b32_e64 v22, 0, 0x87, vcc_lo
	v_lshlrev_b32_e32 v23, 3, v23
	v_lshlrev_b32_e32 v28, 3, v28
	v_add_nc_u32_e32 v22, v29, v22
	v_mul_f16_sdwa v99, v85, v3 dst_sel:DWORD dst_unused:UNUSED_PAD src0_sel:DWORD src1_sel:WORD_1
	v_mul_f16_sdwa v95, v17, v7 dst_sel:DWORD dst_unused:UNUSED_PAD src0_sel:DWORD src1_sel:WORD_1
	;; [unrolled: 1-line block ×11, first 2 shown]
	v_fma_f16 v20, v20, v3, -v99
	v_fma_f16 v21, v21, v5, -v100
	v_mul_f16_sdwa v99, v31, v8 dst_sel:DWORD dst_unused:UNUSED_PAD src0_sel:DWORD src1_sel:WORD_1
	v_mul_f16_sdwa v100, v90, v10 dst_sel:DWORD dst_unused:UNUSED_PAD src0_sel:DWORD src1_sel:WORD_1
	v_fma_f16 v30, v30, v4, -v103
	v_fma_f16 v31, v31, v8, -v104
	v_mul_f16_sdwa v103, v91, v9 dst_sel:DWORD dst_unused:UNUSED_PAD src0_sel:DWORD src1_sel:WORD_1
	v_mul_f16_sdwa v104, v92, v11 dst_sel:DWORD dst_unused:UNUSED_PAD src0_sel:DWORD src1_sel:WORD_1
	v_fma_f16 v80, v80, v7, -v95
	v_mul_f16_sdwa v95, v16, v2 dst_sel:DWORD dst_unused:UNUSED_PAD src0_sel:DWORD src1_sel:WORD_1
	v_fma_f16 v14, v14, v6, -v96
	v_fma_f16 v96, v13, v10, -v100
	v_mul_f16_sdwa v13, v13, v10 dst_sel:DWORD dst_unused:UNUSED_PAD src0_sel:DWORD src1_sel:WORD_1
	v_mul_f16_sdwa v100, v46, v11 dst_sel:DWORD dst_unused:UNUSED_PAD src0_sel:DWORD src1_sel:WORD_1
	v_fma_f16 v103, v45, v9, -v103
	v_fma_f16 v46, v46, v11, -v104
	v_mul_f16_sdwa v45, v45, v9 dst_sel:DWORD dst_unused:UNUSED_PAD src0_sel:DWORD src1_sel:WORD_1
	v_mul_f16_sdwa v104, v84, v2 dst_sel:DWORD dst_unused:UNUSED_PAD src0_sel:DWORD src1_sel:WORD_1
	v_fmac_f16_e32 v97, v17, v7
	v_fmac_f16_e32 v98, v81, v6
	;; [unrolled: 1-line block ×6, first 2 shown]
	v_add_f16_e32 v89, v30, v21
	v_fma_f16 v16, v16, v2, -v104
	v_fmac_f16_e32 v101, v85, v3
	v_fmac_f16_e32 v13, v90, v10
	;; [unrolled: 1-line block ×4, first 2 shown]
	v_add_f16_e32 v86, v98, v97
	v_add_f16_e32 v90, v72, v30
	;; [unrolled: 1-line block ×4, first 2 shown]
	v_fmac_f16_e32 v72, -0.5, v89
	v_add_f16_e32 v89, v94, v95
	v_add_f16_e32 v84, v14, v80
	;; [unrolled: 1-line block ×3, first 2 shown]
	v_sub_f16_e32 v104, v105, v102
	v_fmac_f16_e32 v83, -0.5, v86
	v_add_f16_e32 v86, v71, v16
	v_fmac_f16_e32 v93, -0.5, v91
	v_add_f16_e32 v91, v95, v101
	v_sub_f16_e32 v95, v95, v101
	v_add_f16_e32 v89, v89, v101
	v_add_f16_e32 v101, v96, v46
	;; [unrolled: 1-line block ×4, first 2 shown]
	v_lshrrev_b32_e32 v17, 16, v74
	v_add_f16_e32 v85, v15, v14
	v_fmac_f16_e32 v15, -0.5, v84
	v_add_f16_e32 v84, v16, v20
	v_lshrrev_b32_e32 v81, 16, v73
	v_sub_f16_e32 v16, v16, v20
	v_add_f16_e32 v20, v86, v20
	v_add_f16_e32 v86, v74, v96
	v_fmac_f16_e32 v94, -0.5, v91
	v_add_f16_e32 v91, v13, v100
	v_fmac_f16_e32 v74, -0.5, v101
	v_add_f16_e32 v101, v31, v103
	v_sub_f16_e32 v31, v31, v103
	v_add_f16_e32 v102, v102, v103
	v_add_f16_e32 v103, v99, v45
	v_sub_f16_e32 v30, v30, v21
	v_add_f16_e32 v21, v90, v21
	v_add_f16_e32 v90, v17, v13
	v_fma_f16 v71, -0.5, v84, v71
	v_sub_f16_e32 v14, v14, v80
	v_fmac_f16_e32 v17, -0.5, v91
	v_add_f16_e32 v91, v81, v99
	v_sub_f16_e32 v99, v99, v45
	v_sub_f16_e32 v96, v96, v46
	;; [unrolled: 1-line block ×3, first 2 shown]
	v_fmac_f16_e32 v81, -0.5, v103
	v_fma_f16 v73, -0.5, v101, v73
	v_sub_f16_e32 v98, v98, v97
	v_add_f16_e32 v84, v90, v100
	v_fmamk_f16 v90, v30, 0xbaee, v93
	v_fmac_f16_e32 v93, 0x3aee, v30
	v_pack_b32_f16 v20, v20, v89
	v_fmamk_f16 v30, v95, 0x3aee, v71
	v_fmamk_f16 v89, v16, 0xbaee, v94
	v_fmac_f16_e32 v71, 0xbaee, v95
	v_fmac_f16_e32 v94, 0x3aee, v16
	v_add_f16_e32 v80, v85, v80
	v_add_f16_e32 v85, v87, v97
	v_fmamk_f16 v87, v14, 0xbaee, v83
	v_fmac_f16_e32 v83, 0x3aee, v14
	v_fmamk_f16 v14, v104, 0x3aee, v72
	v_fmac_f16_e32 v72, 0xbaee, v104
	v_add_f16_e32 v45, v91, v45
	v_pack_b32_f16 v16, v21, v92
	v_fmamk_f16 v21, v13, 0x3aee, v74
	v_fmac_f16_e32 v74, 0xbaee, v13
	v_fmamk_f16 v13, v96, 0xbaee, v17
	v_fmac_f16_e32 v17, 0x3aee, v96
	v_fmamk_f16 v92, v99, 0x3aee, v73
	v_fmamk_f16 v95, v31, 0xbaee, v81
	v_add_f16_e32 v46, v86, v46
	v_fmamk_f16 v86, v98, 0x3aee, v15
	v_fmac_f16_e32 v15, 0xbaee, v98
	v_fmac_f16_e32 v73, 0xbaee, v99
	;; [unrolled: 1-line block ×3, first 2 shown]
	v_pack_b32_f16 v30, v30, v89
	v_pack_b32_f16 v71, v71, v94
	;; [unrolled: 1-line block ×3, first 2 shown]
	v_lshlrev_b32_e32 v91, 3, v88
	v_pack_b32_f16 v72, v72, v93
	v_pack_b32_f16 v45, v102, v45
	;; [unrolled: 1-line block ×10, first 2 shown]
	ds_write2_b32 v66, v20, v30 offset1:15
	ds_write_b32 v66, v71 offset:120
	ds_write2_b32 v67, v16, v14 offset1:15
	ds_write_b32 v67, v72 offset:120
	;; [unrolled: 2-line block ×5, first 2 shown]
	v_lshlrev_b32_sdwa v20, v12, v47 dst_sel:DWORD dst_unused:UNUSED_PAD src0_sel:DWORD src1_sel:BYTE_0
	s_waitcnt lgkmcnt(0)
	s_barrier
	buffer_gl0_inv
	s_clause 0x4
	global_load_dwordx2 v[16:17], v91, s[10:11] offset:160
	global_load_dwordx2 v[12:13], v27, s[10:11] offset:160
	global_load_dwordx2 v[14:15], v[18:19], off offset:160
	global_load_dwordx2 v[20:21], v20, s[10:11] offset:160
	global_load_dwordx2 v[18:19], v27, s[10:11] offset:232
	v_mov_b32_e32 v71, 0x87
	ds_read_b32 v74, v63 offset:1512
	ds_read2_b32 v[30:31], v63 offset0:216 offset1:243
	ds_read2_b32 v[45:46], v63 offset0:108 offset1:135
	ds_read2_b32 v[80:81], v65 offset0:14 offset1:41
	v_lshl_add_u32 v73, v88, 2, v25
	v_mul_u32_u24_sdwa v71, v82, v71 dst_sel:DWORD dst_unused:UNUSED_PAD src0_sel:WORD_0 src1_sel:DWORD
	ds_read2_b32 v[82:83], v63 offset0:162 offset1:189
	ds_read2_b32 v[84:85], v63 offset1:27
	ds_read2_b32 v[86:87], v65 offset0:68 offset1:95
	ds_read2_b32 v[88:89], v63 offset0:54 offset1:81
	s_waitcnt vmcnt(0) lgkmcnt(0)
	v_add_nc_u32_sdwa v29, v71, v47 dst_sel:DWORD dst_unused:UNUSED_PAD src0_sel:DWORD src1_sel:BYTE_0
	v_lshl_add_u32 v71, v22, 2, v25
	s_barrier
	buffer_gl0_inv
	v_lshl_add_u32 v72, v29, 2, v25
	v_lshrrev_b32_e32 v22, 16, v74
	v_lshrrev_b32_e32 v25, 16, v31
	;; [unrolled: 1-line block ×12, first 2 shown]
	v_mul_f16_sdwa v101, v90, v13 dst_sel:DWORD dst_unused:UNUSED_PAD src0_sel:DWORD src1_sel:WORD_1
	v_mul_f16_sdwa v102, v91, v15 dst_sel:DWORD dst_unused:UNUSED_PAD src0_sel:DWORD src1_sel:WORD_1
	;; [unrolled: 1-line block ×7, first 2 shown]
	v_fma_f16 v81, v81, v15, -v102
	v_mul_f16_sdwa v102, v96, v20 dst_sel:DWORD dst_unused:UNUSED_PAD src0_sel:DWORD src1_sel:WORD_1
	v_mul_f16_sdwa v100, v74, v17 dst_sel:DWORD dst_unused:UNUSED_PAD src0_sel:DWORD src1_sel:WORD_1
	;; [unrolled: 1-line block ×3, first 2 shown]
	v_fma_f16 v80, v80, v13, -v101
	v_mul_f16_sdwa v101, v82, v14 dst_sel:DWORD dst_unused:UNUSED_PAD src0_sel:DWORD src1_sel:WORD_1
	v_fma_f16 v82, v82, v14, -v105
	v_fma_f16 v105, v83, v18, -v106
	v_mul_f16_sdwa v106, v31, v16 dst_sel:DWORD dst_unused:UNUSED_PAD src0_sel:DWORD src1_sel:WORD_1
	v_fma_f16 v31, v31, v16, -v99
	v_fma_f16 v99, v30, v20, -v102
	v_lshrrev_b32_e32 v102, 16, v87
	v_fma_f16 v98, v74, v17, -v98
	v_mul_f16_sdwa v74, v46, v12 dst_sel:DWORD dst_unused:UNUSED_PAD src0_sel:DWORD src1_sel:WORD_1
	v_mul_f16_sdwa v83, v83, v18 dst_sel:DWORD dst_unused:UNUSED_PAD src0_sel:DWORD src1_sel:WORD_1
	v_fmac_f16_e32 v100, v22, v17
	v_mul_f16_sdwa v22, v47, v12 dst_sel:DWORD dst_unused:UNUSED_PAD src0_sel:DWORD src1_sel:WORD_1
	v_fmac_f16_e32 v106, v25, v16
	v_mul_f16_sdwa v25, v97, v19 dst_sel:DWORD dst_unused:UNUSED_PAD src0_sel:DWORD src1_sel:WORD_1
	v_fmac_f16_e32 v74, v47, v12
	v_mul_f16_sdwa v47, v102, v21 dst_sel:DWORD dst_unused:UNUSED_PAD src0_sel:DWORD src1_sel:WORD_1
	v_fmac_f16_e32 v103, v90, v13
	v_mul_f16_sdwa v90, v86, v19 dst_sel:DWORD dst_unused:UNUSED_PAD src0_sel:DWORD src1_sel:WORD_1
	v_fmac_f16_e32 v104, v91, v15
	v_fmac_f16_e32 v101, v92, v14
	v_mul_f16_sdwa v30, v30, v20 dst_sel:DWORD dst_unused:UNUSED_PAD src0_sel:DWORD src1_sel:WORD_1
	v_fma_f16 v22, v46, v12, -v22
	v_fma_f16 v25, v86, v19, -v25
	v_fmac_f16_e32 v83, v95, v18
	v_add_f16_e32 v86, v106, v100
	v_add_f16_e32 v95, v82, v81
	v_mul_f16_sdwa v91, v87, v21 dst_sel:DWORD dst_unused:UNUSED_PAD src0_sel:DWORD src1_sel:WORD_1
	v_fma_f16 v46, v87, v21, -v47
	v_fmac_f16_e32 v90, v97, v19
	v_add_f16_e32 v47, v31, v98
	v_add_f16_e32 v97, v101, v104
	v_fmac_f16_e32 v30, v96, v20
	v_add_f16_e32 v92, v29, v106
	v_add_f16_e32 v96, v85, v82
	v_fmac_f16_e32 v29, -0.5, v86
	v_add_f16_e32 v86, v94, v74
	v_fmac_f16_e32 v85, -0.5, v95
	v_add_f16_e32 v95, v84, v22
	v_fmac_f16_e32 v91, v102, v21
	v_add_f16_e32 v87, v45, v31
	v_fmac_f16_e32 v45, -0.5, v47
	v_add_f16_e32 v47, v93, v101
	v_fmac_f16_e32 v93, -0.5, v97
	v_add_f16_e32 v97, v74, v103
	v_sub_f16_e32 v102, v74, v103
	v_add_f16_e32 v74, v99, v46
	v_add_f16_e32 v86, v86, v103
	;; [unrolled: 1-line block ×3, first 2 shown]
	v_sub_f16_e32 v22, v22, v80
	v_add_f16_e32 v80, v95, v80
	v_lshrrev_b32_e32 v95, 16, v89
	v_fmac_f16_e32 v94, -0.5, v97
	v_add_f16_e32 v97, v89, v99
	v_fmac_f16_e32 v89, -0.5, v74
	v_add_f16_e32 v74, v30, v91
	v_sub_f16_e32 v82, v82, v81
	v_add_f16_e32 v81, v96, v81
	v_sub_f16_e32 v96, v101, v104
	v_lshrrev_b32_e32 v101, 16, v88
	v_add_f16_e32 v107, v95, v30
	v_fmac_f16_e32 v95, -0.5, v74
	v_add_f16_e32 v47, v47, v104
	v_add_f16_e32 v104, v83, v90
	;; [unrolled: 1-line block ×4, first 2 shown]
	v_sub_f16_e32 v99, v99, v46
	v_add_f16_e32 v46, v97, v46
	v_lshlrev_b32_e32 v97, 3, v26
	v_sub_f16_e32 v26, v30, v91
	v_add_f16_e32 v30, v107, v91
	v_sub_f16_e32 v91, v106, v100
	v_sub_f16_e32 v31, v31, v98
	v_fma_f16 v84, -0.5, v103, v84
	v_sub_f16_e32 v83, v83, v90
	v_add_f16_e32 v90, v74, v90
	v_add_f16_e32 v74, v88, v105
	v_sub_f16_e32 v105, v105, v25
	v_fmac_f16_e32 v101, -0.5, v104
	v_fma_f16 v88, -0.5, v108, v88
	v_add_f16_e32 v87, v87, v98
	v_fmamk_f16 v98, v91, 0x3aee, v45
	v_fmac_f16_e32 v45, 0xbaee, v91
	v_fmamk_f16 v91, v31, 0xbaee, v29
	v_fmac_f16_e32 v29, 0x3aee, v31
	;; [unrolled: 2-line block ×4, first 2 shown]
	v_pack_b32_f16 v80, v80, v86
	v_fmamk_f16 v82, v102, 0x3aee, v84
	v_fmamk_f16 v86, v22, 0xbaee, v94
	v_fmac_f16_e32 v84, 0xbaee, v102
	v_fmac_f16_e32 v94, 0x3aee, v22
	v_add_f16_e32 v25, v74, v25
	v_add_f16_e32 v92, v92, v100
	v_fmamk_f16 v100, v26, 0x3aee, v89
	v_fmac_f16_e32 v89, 0xbaee, v26
	v_fmamk_f16 v26, v99, 0xbaee, v95
	v_pack_b32_f16 v22, v81, v47
	v_fmamk_f16 v47, v83, 0x3aee, v88
	v_fmamk_f16 v81, v105, 0xbaee, v101
	v_fmac_f16_e32 v95, 0x3aee, v99
	v_fmac_f16_e32 v88, 0xbaee, v83
	;; [unrolled: 1-line block ×3, first 2 shown]
	v_pack_b32_f16 v82, v82, v86
	v_pack_b32_f16 v84, v84, v94
	;; [unrolled: 1-line block ×8, first 2 shown]
	v_add_nc_u32_e32 v74, 0x400, v73
	v_pack_b32_f16 v30, v46, v30
	v_pack_b32_f16 v46, v87, v92
	;; [unrolled: 1-line block ×5, first 2 shown]
	ds_write2_b32 v63, v80, v82 offset1:45
	ds_write_b32 v63, v84 offset:360
	ds_write2_b32 v71, v22, v31 offset1:45
	ds_write_b32 v71, v45 offset:360
	ds_write2_b32 v63, v25, v47 offset0:144 offset1:189
	ds_write_b32 v63, v81 offset:936
	ds_write2_b32 v72, v30, v26 offset1:45
	ds_write_b32 v72, v83 offset:360
	ds_write2_b32 v74, v46, v85 offset0:14 offset1:59
	ds_write_b32 v73, v29 offset:1440
	s_waitcnt lgkmcnt(0)
	s_barrier
	buffer_gl0_inv
	global_load_dwordx2 v[22:23], v23, s[10:11] offset:520
	v_lshlrev_b32_e32 v29, 3, v24
	s_clause 0x3
	global_load_dwordx2 v[26:27], v27, s[10:11] offset:520
	global_load_dwordx2 v[24:25], v97, s[10:11] offset:520
	;; [unrolled: 1-line block ×4, first 2 shown]
	ds_read_b32 v47, v63 offset:1512
	ds_read2_b32 v[45:46], v63 offset0:216 offset1:243
	ds_read2_b32 v[80:81], v65 offset0:14 offset1:41
	;; [unrolled: 1-line block ×5, first 2 shown]
	s_waitcnt lgkmcnt(5)
	v_lshrrev_b32_e32 v88, 16, v47
	s_waitcnt lgkmcnt(4)
	v_lshrrev_b32_e32 v89, 16, v46
	;; [unrolled: 2-line block ×3, first 2 shown]
	v_lshrrev_b32_e32 v90, 16, v80
	s_waitcnt lgkmcnt(2)
	v_lshrrev_b32_e32 v92, 16, v82
	v_lshrrev_b32_e32 v93, 16, v83
	;; [unrolled: 1-line block ×3, first 2 shown]
	s_waitcnt lgkmcnt(1)
	v_lshrrev_b32_e32 v95, 16, v84
	v_lshrrev_b32_e32 v96, 16, v85
	s_waitcnt vmcnt(4)
	v_mul_f16_sdwa v98, v89, v22 dst_sel:DWORD dst_unused:UNUSED_PAD src0_sel:DWORD src1_sel:WORD_1
	s_waitcnt vmcnt(3)
	v_mul_f16_sdwa v101, v90, v27 dst_sel:DWORD dst_unused:UNUSED_PAD src0_sel:DWORD src1_sel:WORD_1
	s_waitcnt vmcnt(2)
	v_mul_f16_sdwa v102, v91, v25 dst_sel:DWORD dst_unused:UNUSED_PAD src0_sel:DWORD src1_sel:WORD_1
	v_mul_f16_sdwa v104, v81, v25 dst_sel:DWORD dst_unused:UNUSED_PAD src0_sel:DWORD src1_sel:WORD_1
	v_mul_f16_sdwa v105, v92, v24 dst_sel:DWORD dst_unused:UNUSED_PAD src0_sel:DWORD src1_sel:WORD_1
	s_waitcnt vmcnt(1)
	v_mul_f16_sdwa v106, v93, v30 dst_sel:DWORD dst_unused:UNUSED_PAD src0_sel:DWORD src1_sel:WORD_1
	v_mul_f16_sdwa v97, v88, v23 dst_sel:DWORD dst_unused:UNUSED_PAD src0_sel:DWORD src1_sel:WORD_1
	v_fma_f16 v81, v81, v25, -v102
	s_waitcnt vmcnt(0)
	v_mul_f16_sdwa v102, v94, v28 dst_sel:DWORD dst_unused:UNUSED_PAD src0_sel:DWORD src1_sel:WORD_1
	v_mul_f16_sdwa v99, v47, v23 dst_sel:DWORD dst_unused:UNUSED_PAD src0_sel:DWORD src1_sel:WORD_1
	;; [unrolled: 1-line block ×4, first 2 shown]
	v_fma_f16 v80, v80, v27, -v101
	v_mul_f16_sdwa v101, v82, v24 dst_sel:DWORD dst_unused:UNUSED_PAD src0_sel:DWORD src1_sel:WORD_1
	v_fma_f16 v82, v82, v24, -v105
	v_fma_f16 v105, v83, v30, -v106
	v_mul_f16_sdwa v106, v45, v28 dst_sel:DWORD dst_unused:UNUSED_PAD src0_sel:DWORD src1_sel:WORD_1
	v_fma_f16 v98, v46, v22, -v98
	v_fma_f16 v102, v45, v28, -v102
	v_mul_f16_sdwa v45, v95, v31 dst_sel:DWORD dst_unused:UNUSED_PAD src0_sel:DWORD src1_sel:WORD_1
	v_mul_f16_sdwa v46, v96, v29 dst_sel:DWORD dst_unused:UNUSED_PAD src0_sel:DWORD src1_sel:WORD_1
	v_fma_f16 v47, v47, v23, -v97
	v_mul_f16_sdwa v97, v84, v31 dst_sel:DWORD dst_unused:UNUSED_PAD src0_sel:DWORD src1_sel:WORD_1
	v_fmac_f16_e32 v99, v88, v23
	v_mul_f16_sdwa v88, v85, v29 dst_sel:DWORD dst_unused:UNUSED_PAD src0_sel:DWORD src1_sel:WORD_1
	v_fma_f16 v84, v84, v31, -v45
	v_fma_f16 v85, v85, v29, -v46
	ds_read2_b32 v[45:46], v63 offset1:27
	v_mul_f16_sdwa v83, v83, v30 dst_sel:DWORD dst_unused:UNUSED_PAD src0_sel:DWORD src1_sel:WORD_1
	v_fmac_f16_e32 v100, v89, v22
	v_fmac_f16_e32 v104, v91, v25
	;; [unrolled: 1-line block ×3, first 2 shown]
	v_add_f16_e32 v92, v98, v47
	s_waitcnt lgkmcnt(1)
	v_lshrrev_b32_e32 v89, 16, v86
	v_fmac_f16_e32 v83, v93, v30
	v_fmac_f16_e32 v106, v94, v28
	;; [unrolled: 1-line block ×3, first 2 shown]
	v_add_f16_e32 v93, v86, v98
	v_add_f16_e32 v94, v100, v99
	;; [unrolled: 1-line block ×3, first 2 shown]
	v_fmac_f16_e32 v86, -0.5, v92
	v_add_f16_e32 v92, v101, v104
	v_fmac_f16_e32 v103, v90, v27
	v_lshrrev_b32_e32 v90, 16, v87
	v_fmac_f16_e32 v97, v95, v31
	v_add_f16_e32 v95, v89, v100
	v_fmac_f16_e32 v89, -0.5, v94
	s_waitcnt lgkmcnt(0)
	v_lshrrev_b32_e32 v91, 16, v46
	v_add_f16_e32 v94, v46, v82
	v_fmac_f16_e32 v46, -0.5, v96
	v_lshrrev_b32_e32 v108, 16, v45
	v_sub_f16_e32 v82, v82, v81
	v_add_f16_e32 v96, v91, v101
	v_fmac_f16_e32 v91, -0.5, v92
	v_mul_f16_sdwa v92, v87, v26 dst_sel:DWORD dst_unused:UNUSED_PAD src0_sel:DWORD src1_sel:WORD_1
	v_add_f16_e32 v94, v94, v81
	v_sub_f16_e32 v101, v101, v104
	v_add_f16_e32 v96, v96, v104
	v_add_f16_e32 v104, v102, v85
	v_fmac_f16_e32 v92, v90, v26
	v_mul_f16_sdwa v90, v90, v26 dst_sel:DWORD dst_unused:UNUSED_PAD src0_sel:DWORD src1_sel:WORD_1
	v_add_f16_e32 v112, v83, v97
	v_add_f16_e32 v114, v105, v84
	v_sub_f16_e32 v98, v98, v47
	v_add_f16_e32 v109, v108, v92
	v_fma_f16 v87, v87, v26, -v90
	v_add_f16_e32 v47, v93, v47
	v_sub_f16_e32 v93, v100, v99
	v_fmamk_f16 v100, v82, 0xbaee, v91
	v_fmac_f16_e32 v91, 0x3aee, v82
	v_add_f16_e32 v90, v45, v87
	v_add_f16_e32 v107, v87, v80
	v_sub_f16_e32 v87, v87, v80
	v_add_f16_e32 v95, v95, v99
	v_fmamk_f16 v99, v93, 0x3aee, v86
	v_add_f16_e32 v90, v90, v80
	v_add_f16_e32 v80, v92, v103
	v_sub_f16_e32 v92, v92, v103
	v_add_f16_e32 v103, v109, v103
	v_fma_f16 v45, -0.5, v107, v45
	v_fmac_f16_e32 v86, 0xbaee, v93
	v_fmac_f16_e32 v108, -0.5, v80
	ds_read2_b32 v[80:81], v63 offset0:54 offset1:81
	v_fmamk_f16 v93, v98, 0xbaee, v89
	v_fmamk_f16 v82, v92, 0x3aee, v45
	v_fmac_f16_e32 v45, 0xbaee, v92
	v_fmamk_f16 v92, v87, 0xbaee, v108
	v_fmac_f16_e32 v108, 0x3aee, v87
	v_fmac_f16_e32 v89, 0x3aee, v98
	v_fmamk_f16 v98, v101, 0x3aee, v46
	v_fmac_f16_e32 v46, 0xbaee, v101
	v_pack_b32_f16 v87, v90, v103
	v_pack_b32_f16 v90, v94, v96
	v_pack_b32_f16 v82, v82, v92
	v_pack_b32_f16 v45, v45, v108
	v_pack_b32_f16 v47, v47, v95
	v_pack_b32_f16 v86, v86, v89
	v_pack_b32_f16 v46, v46, v91
	v_pack_b32_f16 v91, v99, v93
	s_waitcnt lgkmcnt(0)
	v_lshrrev_b32_e32 v109, 16, v81
	v_add_f16_e32 v110, v81, v102
	v_fmac_f16_e32 v81, -0.5, v104
	v_add_f16_e32 v104, v106, v88
	v_sub_f16_e32 v102, v102, v85
	v_add_f16_e32 v111, v109, v106
	v_sub_f16_e32 v106, v106, v88
	v_add_f16_e32 v85, v110, v85
	v_fmac_f16_e32 v109, -0.5, v104
	v_lshrrev_b32_e32 v104, 16, v80
	v_add_f16_e32 v88, v111, v88
	v_fmamk_f16 v94, v106, 0x3aee, v81
	v_fmac_f16_e32 v81, 0xbaee, v106
	v_fmamk_f16 v96, v102, 0xbaee, v109
	v_add_f16_e32 v113, v104, v83
	v_fmac_f16_e32 v104, -0.5, v112
	v_add_f16_e32 v112, v80, v105
	v_sub_f16_e32 v105, v105, v84
	v_sub_f16_e32 v83, v83, v97
	v_fma_f16 v80, -0.5, v114, v80
	v_add_f16_e32 v97, v113, v97
	v_add_f16_e32 v84, v112, v84
	v_fmac_f16_e32 v109, 0x3aee, v102
	v_pack_b32_f16 v85, v85, v88
	v_fmamk_f16 v101, v83, 0x3aee, v80
	v_fmac_f16_e32 v80, 0xbaee, v83
	v_fmamk_f16 v83, v105, 0xbaee, v104
	v_fmac_f16_e32 v104, 0x3aee, v105
	v_pack_b32_f16 v88, v98, v100
	v_pack_b32_f16 v89, v94, v96
	;; [unrolled: 1-line block ×6, first 2 shown]
	ds_write_b32 v63, v82 offset:540
	ds_write_b32 v63, v45 offset:1080
	ds_write2_b32 v63, v87, v90 offset1:27
	ds_write2_b32 v63, v88, v83 offset0:162 offset1:189
	ds_write2_b32 v65, v46, v80 offset0:41 offset1:68
	;; [unrolled: 1-line block ×3, first 2 shown]
	ds_write_b32 v63, v81 offset:1404
	ds_write_b32 v63, v47 offset:432
	ds_write2_b32 v63, v89, v91 offset0:216 offset1:243
	ds_write_b32 v63, v86 offset:1512
	s_waitcnt lgkmcnt(0)
	s_barrier
	buffer_gl0_inv
	s_clause 0xe
	global_load_dword v47, v0, s[8:9] offset:1620
	global_load_dword v88, v0, s[6:7] offset:108
	;; [unrolled: 1-line block ×15, first 2 shown]
	ds_read2_b32 v[45:46], v63 offset1:27
	ds_read2_b32 v[80:81], v63 offset0:162 offset1:189
	ds_read2_b32 v[82:83], v65 offset0:68 offset1:95
	;; [unrolled: 1-line block ×4, first 2 shown]
	s_waitcnt lgkmcnt(4)
	v_lshrrev_b32_e32 v101, 16, v45
	v_lshrrev_b32_e32 v102, 16, v46
	s_waitcnt lgkmcnt(3)
	v_lshrrev_b32_e32 v105, 16, v80
	s_waitcnt vmcnt(14)
	v_mul_f16_sdwa v103, v45, v47 dst_sel:DWORD dst_unused:UNUSED_PAD src0_sel:DWORD src1_sel:WORD_1
	v_mul_f16_sdwa v104, v101, v47 dst_sel:DWORD dst_unused:UNUSED_PAD src0_sel:DWORD src1_sel:WORD_1
	s_waitcnt vmcnt(13)
	v_mul_f16_sdwa v106, v102, v88 dst_sel:DWORD dst_unused:UNUSED_PAD src0_sel:DWORD src1_sel:WORD_1
	v_fmac_f16_e32 v103, v101, v47
	v_mul_f16_sdwa v101, v46, v88 dst_sel:DWORD dst_unused:UNUSED_PAD src0_sel:DWORD src1_sel:WORD_1
	v_fma_f16 v47, v45, v47, -v104
	v_lshrrev_b32_e32 v45, 16, v81
	v_fma_f16 v104, v46, v88, -v106
	s_waitcnt vmcnt(12)
	v_mul_f16_sdwa v106, v80, v89 dst_sel:DWORD dst_unused:UNUSED_PAD src0_sel:DWORD src1_sel:WORD_1
	v_mul_f16_sdwa v46, v105, v89 dst_sel:DWORD dst_unused:UNUSED_PAD src0_sel:DWORD src1_sel:WORD_1
	v_fmac_f16_e32 v101, v102, v88
	s_waitcnt lgkmcnt(2)
	v_lshrrev_b32_e32 v88, 16, v82
	s_waitcnt vmcnt(11)
	v_mul_f16_sdwa v102, v45, v90 dst_sel:DWORD dst_unused:UNUSED_PAD src0_sel:DWORD src1_sel:WORD_1
	v_fmac_f16_e32 v106, v105, v89
	v_mul_f16_sdwa v105, v81, v90 dst_sel:DWORD dst_unused:UNUSED_PAD src0_sel:DWORD src1_sel:WORD_1
	v_fma_f16 v80, v80, v89, -v46
	v_lshrrev_b32_e32 v46, 16, v83
	v_fma_f16 v81, v81, v90, -v102
	s_waitcnt vmcnt(10)
	v_mul_f16_sdwa v89, v82, v91 dst_sel:DWORD dst_unused:UNUSED_PAD src0_sel:DWORD src1_sel:WORD_1
	v_mul_f16_sdwa v102, v88, v91 dst_sel:DWORD dst_unused:UNUSED_PAD src0_sel:DWORD src1_sel:WORD_1
	v_fmac_f16_e32 v105, v45, v90
	s_waitcnt lgkmcnt(1)
	v_lshrrev_b32_e32 v90, 16, v85
	s_waitcnt vmcnt(9)
	v_mul_f16_sdwa v45, v46, v92 dst_sel:DWORD dst_unused:UNUSED_PAD src0_sel:DWORD src1_sel:WORD_1
	v_fmac_f16_e32 v89, v88, v91
	v_mul_f16_sdwa v88, v83, v92 dst_sel:DWORD dst_unused:UNUSED_PAD src0_sel:DWORD src1_sel:WORD_1
	v_fma_f16 v82, v82, v91, -v102
	s_waitcnt vmcnt(8)
	v_mul_f16_sdwa v91, v85, v93 dst_sel:DWORD dst_unused:UNUSED_PAD src0_sel:DWORD src1_sel:WORD_1
	v_lshrrev_b32_e32 v102, 16, v84
	v_fma_f16 v83, v83, v92, -v45
	v_mul_f16_sdwa v107, v90, v93 dst_sel:DWORD dst_unused:UNUSED_PAD src0_sel:DWORD src1_sel:WORD_1
	v_fmac_f16_e32 v88, v46, v92
	ds_read2_b32 v[45:46], v63 offset0:216 offset1:243
	v_fmac_f16_e32 v91, v90, v93
	s_waitcnt vmcnt(4)
	v_mul_f16_sdwa v90, v102, v97 dst_sel:DWORD dst_unused:UNUSED_PAD src0_sel:DWORD src1_sel:WORD_1
	v_mul_f16_sdwa v92, v84, v97 dst_sel:DWORD dst_unused:UNUSED_PAD src0_sel:DWORD src1_sel:WORD_1
	v_fma_f16 v85, v85, v93, -v107
	s_waitcnt lgkmcnt(1)
	v_mul_f16_sdwa v93, v86, v94 dst_sel:DWORD dst_unused:UNUSED_PAD src0_sel:DWORD src1_sel:WORD_1
	v_pack_b32_f16 v47, v47, v103
	v_fma_f16 v84, v84, v97, -v90
	v_lshrrev_b32_e32 v90, 16, v86
	v_fmac_f16_e32 v92, v102, v97
	v_lshrrev_b32_e32 v97, 16, v87
	v_pack_b32_f16 v80, v80, v106
	v_pack_b32_f16 v81, v81, v105
	v_mul_f16_sdwa v102, v90, v94 dst_sel:DWORD dst_unused:UNUSED_PAD src0_sel:DWORD src1_sel:WORD_1
	v_fmac_f16_e32 v93, v90, v94
	v_mul_f16_sdwa v90, v97, v96 dst_sel:DWORD dst_unused:UNUSED_PAD src0_sel:DWORD src1_sel:WORD_1
	v_pack_b32_f16 v82, v82, v89
	v_pack_b32_f16 v83, v83, v88
	v_fma_f16 v86, v86, v94, -v102
	v_mul_f16_sdwa v94, v87, v96 dst_sel:DWORD dst_unused:UNUSED_PAD src0_sel:DWORD src1_sel:WORD_1
	v_fma_f16 v87, v87, v96, -v90
	s_waitcnt lgkmcnt(0)
	v_lshrrev_b32_e32 v90, 16, v46
	s_waitcnt vmcnt(3)
	v_mul_f16_sdwa v102, v46, v98 dst_sel:DWORD dst_unused:UNUSED_PAD src0_sel:DWORD src1_sel:WORD_1
	v_pack_b32_f16 v85, v85, v91
	v_fmac_f16_e32 v94, v97, v96
	v_lshrrev_b32_e32 v96, 16, v45
	v_mul_f16_sdwa v97, v90, v98 dst_sel:DWORD dst_unused:UNUSED_PAD src0_sel:DWORD src1_sel:WORD_1
	v_fmac_f16_e32 v102, v90, v98
	v_pack_b32_f16 v84, v84, v92
	v_pack_b32_f16 v86, v86, v93
	v_mul_f16_sdwa v90, v96, v95 dst_sel:DWORD dst_unused:UNUSED_PAD src0_sel:DWORD src1_sel:WORD_1
	v_fma_f16 v97, v46, v98, -v97
	v_mul_f16_sdwa v98, v45, v95 dst_sel:DWORD dst_unused:UNUSED_PAD src0_sel:DWORD src1_sel:WORD_1
	v_pack_b32_f16 v87, v87, v94
	v_fma_f16 v90, v45, v95, -v90
	ds_read2_b32 v[45:46], v65 offset0:14 offset1:41
	v_fmac_f16_e32 v98, v96, v95
	v_pack_b32_f16 v88, v97, v102
	v_pack_b32_f16 v89, v90, v98
	s_waitcnt lgkmcnt(0)
	v_lshrrev_b32_e32 v95, 16, v45
	s_waitcnt vmcnt(2)
	v_mul_f16_sdwa v96, v45, v99 dst_sel:DWORD dst_unused:UNUSED_PAD src0_sel:DWORD src1_sel:WORD_1
	v_fmac_f16_e32 v96, v95, v99
	v_mul_f16_sdwa v95, v95, v99 dst_sel:DWORD dst_unused:UNUSED_PAD src0_sel:DWORD src1_sel:WORD_1
	v_fma_f16 v45, v45, v99, -v95
	v_lshrrev_b32_e32 v95, 16, v46
	v_pack_b32_f16 v45, v45, v96
	s_waitcnt vmcnt(0)
	v_mul_f16_sdwa v99, v95, v0 dst_sel:DWORD dst_unused:UNUSED_PAD src0_sel:DWORD src1_sel:WORD_1
	v_fma_f16 v99, v46, v0, -v99
	v_mul_f16_sdwa v46, v46, v0 dst_sel:DWORD dst_unused:UNUSED_PAD src0_sel:DWORD src1_sel:WORD_1
	v_fmac_f16_e32 v46, v95, v0
	ds_read_b32 v0, v63 offset:1512
	v_pack_b32_f16 v46, v99, v46
	s_waitcnt lgkmcnt(0)
	v_lshrrev_b32_e32 v95, 16, v0
	v_mul_f16_sdwa v107, v95, v100 dst_sel:DWORD dst_unused:UNUSED_PAD src0_sel:DWORD src1_sel:WORD_1
	v_fma_f16 v107, v0, v100, -v107
	v_mul_f16_sdwa v0, v0, v100 dst_sel:DWORD dst_unused:UNUSED_PAD src0_sel:DWORD src1_sel:WORD_1
	v_fmac_f16_e32 v0, v95, v100
	v_pack_b32_f16 v95, v104, v101
	v_pack_b32_f16 v0, v107, v0
	ds_write2_b32 v63, v47, v95 offset1:27
	ds_write2_b32 v63, v80, v81 offset0:162 offset1:189
	ds_write2_b32 v65, v82, v83 offset0:68 offset1:95
	;; [unrolled: 1-line block ×6, first 2 shown]
	ds_write_b32 v63, v0 offset:1512
	s_waitcnt lgkmcnt(0)
	s_barrier
	buffer_gl0_inv
	ds_read2_b32 v[45:46], v63 offset0:162 offset1:189
	ds_read2_b32 v[80:81], v63 offset0:54 offset1:81
	;; [unrolled: 1-line block ×4, first 2 shown]
	ds_read2_b32 v[86:87], v63 offset1:27
	ds_read2_b32 v[88:89], v65 offset0:14 offset1:41
	ds_read2_b32 v[90:91], v63 offset0:108 offset1:135
	ds_read_b32 v0, v63 offset:1512
	s_waitcnt lgkmcnt(0)
	s_barrier
	buffer_gl0_inv
	v_pk_add_f16 v47, v81, v45 neg_lo:[0,1] neg_hi:[0,1]
	v_pk_add_f16 v97, v81, v82
	v_pk_add_f16 v93, v45, v85
	;; [unrolled: 1-line block ×6, first 2 shown]
	v_pk_add_f16 v94, v81, v82 neg_lo:[0,1] neg_hi:[0,1]
	v_pk_add_f16 v95, v45, v85 neg_lo:[0,1] neg_hi:[0,1]
	;; [unrolled: 1-line block ×3, first 2 shown]
	v_pk_add_f16 v45, v96, v45
	v_pk_add_f16 v92, v82, v85 neg_lo:[0,1] neg_hi:[0,1]
	v_pk_add_f16 v98, v85, v82 neg_lo:[0,1] neg_hi:[0,1]
	v_pk_add_f16 v102, v90, v46 neg_lo:[0,1] neg_hi:[0,1]
	v_pk_add_f16 v104, v90, v83 neg_lo:[0,1] neg_hi:[0,1]
	v_pk_add_f16 v105, v46, v88 neg_lo:[0,1] neg_hi:[0,1]
	v_pk_fma_f16 v93, v93, 0.5, v86 op_sel_hi:[1,0,1] neg_lo:[1,0,0] neg_hi:[1,0,0]
	v_pk_fma_f16 v86, v97, 0.5, v86 op_sel_hi:[1,0,1] neg_lo:[1,0,0] neg_hi:[1,0,0]
	;; [unrolled: 1-line block ×4, first 2 shown]
	v_pk_add_f16 v99, v84, v89
	v_pk_add_f16 v100, v91, v0
	v_pk_add_f16 v96, v101, v46
	v_pk_add_f16 v46, v46, v90 neg_lo:[0,1] neg_hi:[0,1]
	v_pk_add_f16 v90, v80, v91
	v_pk_add_f16 v103, v83, v88 neg_lo:[0,1] neg_hi:[0,1]
	v_pk_add_f16 v45, v45, v85
	v_pk_add_f16 v85, v88, v83 neg_lo:[0,1] neg_hi:[0,1]
	v_pk_add_f16 v101, v84, v91 neg_lo:[0,1] neg_hi:[0,1]
	v_pk_add_f16 v47, v47, v92
	v_pk_add_f16 v92, v89, v0 neg_lo:[0,1] neg_hi:[0,1]
	v_pk_fma_f16 v99, v99, 0.5, v80 op_sel_hi:[1,0,1] neg_lo:[1,0,0] neg_hi:[1,0,0]
	v_pk_fma_f16 v80, v100, 0.5, v80 op_sel_hi:[1,0,1] neg_lo:[1,0,0] neg_hi:[1,0,0]
	v_pk_add_f16 v100, v91, v84 neg_lo:[0,1] neg_hi:[0,1]
	v_pk_add_f16 v90, v90, v84
	v_pk_add_f16 v84, v84, v89 neg_lo:[0,1] neg_hi:[0,1]
	v_pk_add_f16 v91, v91, v0 neg_lo:[0,1] neg_hi:[0,1]
	;; [unrolled: 1-line block ×3, first 2 shown]
	v_pk_add_f16 v81, v81, v98
	v_pk_mul_f16 v98, 0x3b9c, v94 op_sel_hi:[0,1]
	v_pk_add_f16 v102, v102, v103
	v_pk_mul_f16 v103, 0x38b4, v95 op_sel_hi:[0,1]
	v_pk_mul_f16 v95, 0x3b9c, v95 op_sel_hi:[0,1]
	v_pk_add_f16 v46, v46, v85
	v_pk_mul_f16 v85, 0x3b9c, v104 op_sel_hi:[0,1]
	v_pk_add_f16 v92, v101, v92
	;; [unrolled: 2-line block ×3, first 2 shown]
	v_pk_mul_f16 v106, 0x38b4, v105 op_sel_hi:[0,1]
	v_pk_mul_f16 v105, 0x3b9c, v91 op_sel_hi:[0,1]
	v_pk_add_f16 v88, v96, v88
	v_pk_add_f16 v89, v90, v89
	v_pk_mul_f16 v90, 0x3b9c, v84 op_sel_hi:[0,1]
	v_pk_mul_f16 v96, 0x38b4, v104 op_sel_hi:[0,1]
	v_pk_add_f16 v104, v93, v98 op_sel:[0,1] op_sel_hi:[1,0] neg_lo:[0,1] neg_hi:[0,1]
	v_pk_add_f16 v93, v93, v98 op_sel:[0,1] op_sel_hi:[1,0]
	v_pk_mul_f16 v94, 0x38b4, v94 op_sel_hi:[0,1]
	v_pk_add_f16 v98, v86, v95 op_sel:[0,1] op_sel_hi:[1,0]
	v_pk_add_f16 v86, v86, v95 op_sel:[0,1] op_sel_hi:[1,0] neg_lo:[0,1] neg_hi:[0,1]
	v_pk_add_f16 v95, v97, v85 op_sel:[0,1] op_sel_hi:[1,0] neg_lo:[0,1] neg_hi:[0,1]
	v_pk_add_f16 v85, v97, v85 op_sel:[0,1] op_sel_hi:[1,0]
	v_pk_add_f16 v97, v87, v101 op_sel:[0,1] op_sel_hi:[1,0]
	v_pk_add_f16 v87, v87, v101 op_sel:[0,1] op_sel_hi:[1,0] neg_lo:[0,1] neg_hi:[0,1]
	v_pk_mul_f16 v84, 0x38b4, v84 op_sel_hi:[0,1]
	v_pk_mul_f16 v91, 0x38b4, v91 op_sel_hi:[0,1]
	v_pk_add_f16 v101, v99, v105 op_sel:[0,1] op_sel_hi:[1,0] neg_lo:[0,1] neg_hi:[0,1]
	v_pk_add_f16 v99, v99, v105 op_sel:[0,1] op_sel_hi:[1,0]
	v_pk_add_f16 v105, v80, v90 op_sel:[0,1] op_sel_hi:[1,0]
	v_pk_add_f16 v80, v80, v90 op_sel:[0,1] op_sel_hi:[1,0] neg_lo:[0,1] neg_hi:[0,1]
	v_pk_add_f16 v90, v104, v103 op_sel:[0,1] op_sel_hi:[1,0] neg_lo:[0,1] neg_hi:[0,1]
	v_pk_add_f16 v93, v93, v103 op_sel:[0,1] op_sel_hi:[1,0]
	v_pk_add_f16 v45, v45, v82
	v_pk_add_f16 v82, v98, v94 op_sel:[0,1] op_sel_hi:[1,0] neg_lo:[0,1] neg_hi:[0,1]
	v_pk_add_f16 v86, v86, v94 op_sel:[0,1] op_sel_hi:[1,0]
	v_pk_add_f16 v94, v95, v106 op_sel:[0,1] op_sel_hi:[1,0] neg_lo:[0,1] neg_hi:[0,1]
	v_pk_add_f16 v85, v85, v106 op_sel:[0,1] op_sel_hi:[1,0]
	v_pk_add_f16 v83, v88, v83
	v_pk_add_f16 v88, v97, v96 op_sel:[0,1] op_sel_hi:[1,0] neg_lo:[0,1] neg_hi:[0,1]
	v_pk_add_f16 v87, v87, v96 op_sel:[0,1] op_sel_hi:[1,0]
	v_pk_add_f16 v95, v101, v84 op_sel:[0,1] op_sel_hi:[1,0] neg_lo:[0,1] neg_hi:[0,1]
	v_pk_add_f16 v84, v99, v84 op_sel:[0,1] op_sel_hi:[1,0]
	v_pk_add_f16 v96, v105, v91 op_sel:[0,1] op_sel_hi:[1,0] neg_lo:[0,1] neg_hi:[0,1]
	v_pk_add_f16 v80, v80, v91 op_sel:[0,1] op_sel_hi:[1,0]
	v_pk_add_f16 v0, v89, v0
	v_bfi_b32 v89, 0xffff, v90, v93
	v_bfi_b32 v91, 0xffff, v82, v86
	;; [unrolled: 1-line block ×12, first 2 shown]
	v_pk_fma_f16 v89, 0x34f2, v47, v89 op_sel_hi:[0,1,1]
	v_pk_fma_f16 v91, 0x34f2, v81, v91 op_sel_hi:[0,1,1]
	v_pk_fma_f16 v81, 0x34f2, v81, v82 op_sel_hi:[0,1,1]
	v_pk_fma_f16 v47, 0x34f2, v47, v86 op_sel_hi:[0,1,1]
	v_pk_fma_f16 v82, 0x34f2, v102, v90 op_sel_hi:[0,1,1]
	v_pk_fma_f16 v86, 0x34f2, v46, v93 op_sel_hi:[0,1,1]
	v_pk_fma_f16 v46, 0x34f2, v46, v87 op_sel_hi:[0,1,1]
	v_pk_fma_f16 v85, 0x34f2, v102, v85 op_sel_hi:[0,1,1]
	v_pk_fma_f16 v87, 0x34f2, v92, v88 op_sel_hi:[0,1,1]
	v_pk_fma_f16 v80, 0x34f2, v92, v80 op_sel_hi:[0,1,1]
	v_pk_fma_f16 v88, 0x34f2, v100, v94 op_sel_hi:[0,1,1]
	v_pk_fma_f16 v84, 0x34f2, v100, v84 op_sel_hi:[0,1,1]
	ds_write2_b32 v42, v45, v89 offset1:1
	ds_write2_b32 v42, v91, v81 offset0:2 offset1:3
	ds_write_b32 v42, v47 offset:16
	ds_write2_b32 v44, v83, v82 offset1:1
	ds_write2_b32 v44, v86, v46 offset0:2 offset1:3
	ds_write_b32 v44, v85 offset:16
	;; [unrolled: 3-line block ×3, first 2 shown]
	s_waitcnt lgkmcnt(0)
	s_barrier
	buffer_gl0_inv
	ds_read_b32 v0, v63 offset:1512
	ds_read2_b32 v[42:43], v63 offset0:216 offset1:243
	ds_read2_b32 v[80:81], v65 offset0:68 offset1:95
	;; [unrolled: 1-line block ×5, first 2 shown]
	ds_read2_b32 v[88:89], v63 offset1:27
	ds_read2_b32 v[90:91], v63 offset0:54 offset1:81
	s_waitcnt lgkmcnt(0)
	s_barrier
	buffer_gl0_inv
	v_mad_u64_u32 v[44:45], null, s30, v1, 0
	v_mad_u64_u32 v[46:47], null, s28, v64, 0
	v_lshrrev_b32_e32 v92, 16, v0
	v_mul_f16_sdwa v93, v41, v0 dst_sel:DWORD dst_unused:UNUSED_PAD src0_sel:WORD_1 src1_sel:DWORD
	v_lshrrev_b32_e32 v94, 16, v43
	v_lshrrev_b32_e32 v96, 16, v42
	v_mul_f16_sdwa v95, v40, v43 dst_sel:DWORD dst_unused:UNUSED_PAD src0_sel:WORD_1 src1_sel:DWORD
	v_mul_f16_sdwa v104, v41, v92 dst_sel:DWORD dst_unused:UNUSED_PAD src0_sel:WORD_1 src1_sel:DWORD
	;; [unrolled: 1-line block ×3, first 2 shown]
	v_lshrrev_b32_e32 v98, 16, v81
	v_lshrrev_b32_e32 v100, 16, v80
	v_fma_f16 v92, v41, v92, -v93
	v_mul_f16_sdwa v93, v40, v94 dst_sel:DWORD dst_unused:UNUSED_PAD src0_sel:WORD_1 src1_sel:DWORD
	v_fmac_f16_e32 v104, v41, v0
	v_mul_f16_sdwa v41, v38, v96 dst_sel:DWORD dst_unused:UNUSED_PAD src0_sel:WORD_1 src1_sel:DWORD
	v_mul_f16_sdwa v99, v39, v81 dst_sel:DWORD dst_unused:UNUSED_PAD src0_sel:WORD_1 src1_sel:DWORD
	v_fma_f16 v94, v40, v94, -v95
	v_lshrrev_b32_e32 v95, 16, v82
	v_mul_f16_sdwa v0, v34, v82 dst_sel:DWORD dst_unused:UNUSED_PAD src0_sel:WORD_1 src1_sel:DWORD
	v_fmac_f16_e32 v93, v40, v43
	v_fma_f16 v43, v38, v96, -v97
	v_mul_f16_sdwa v97, v39, v98 dst_sel:DWORD dst_unused:UNUSED_PAD src0_sel:WORD_1 src1_sel:DWORD
	v_fmac_f16_e32 v41, v38, v42
	v_mul_f16_sdwa v38, v37, v100 dst_sel:DWORD dst_unused:UNUSED_PAD src0_sel:WORD_1 src1_sel:DWORD
	v_mul_f16_sdwa v101, v37, v80 dst_sel:DWORD dst_unused:UNUSED_PAD src0_sel:WORD_1 src1_sel:DWORD
	v_lshrrev_b32_e32 v102, 16, v83
	v_lshrrev_b32_e32 v40, 16, v85
	v_fma_f16 v96, v39, v98, -v99
	v_mul_f16_sdwa v98, v35, v85 dst_sel:DWORD dst_unused:UNUSED_PAD src0_sel:WORD_1 src1_sel:DWORD
	v_lshrrev_b32_e32 v42, 16, v84
	v_fmac_f16_e32 v97, v39, v81
	v_mul_f16_sdwa v39, v33, v84 dst_sel:DWORD dst_unused:UNUSED_PAD src0_sel:WORD_1 src1_sel:DWORD
	v_lshrrev_b32_e32 v81, 16, v87
	v_fmac_f16_e32 v38, v37, v80
	v_mul_f16_sdwa v80, v32, v87 dst_sel:DWORD dst_unused:UNUSED_PAD src0_sel:WORD_1 src1_sel:DWORD
	v_fma_f16 v0, v34, v95, -v0
	v_mul_f16_sdwa v95, v34, v95 dst_sel:DWORD dst_unused:UNUSED_PAD src0_sel:WORD_1 src1_sel:DWORD
	v_mul_f16_sdwa v103, v36, v83 dst_sel:DWORD dst_unused:UNUSED_PAD src0_sel:WORD_1 src1_sel:DWORD
	;; [unrolled: 1-line block ×3, first 2 shown]
	v_fma_f16 v98, v35, v40, -v98
	v_mul_f16_sdwa v40, v35, v40 dst_sel:DWORD dst_unused:UNUSED_PAD src0_sel:WORD_1 src1_sel:DWORD
	v_fma_f16 v39, v33, v42, -v39
	v_fmac_f16_e32 v95, v34, v82
	v_mul_f16_sdwa v34, v32, v81 dst_sel:DWORD dst_unused:UNUSED_PAD src0_sel:WORD_1 src1_sel:DWORD
	v_fma_f16 v80, v32, v81, -v80
	v_fma_f16 v37, v37, v100, -v101
	v_lshrrev_b32_e32 v100, 16, v86
	v_fma_f16 v101, v36, v102, -v103
	v_lshrrev_b32_e32 v102, 16, v89
	v_fmac_f16_e32 v99, v36, v83
	v_lshrrev_b32_e32 v36, 16, v88
	v_lshrrev_b32_e32 v83, 16, v91
	v_mul_f16_sdwa v42, v33, v42 dst_sel:DWORD dst_unused:UNUSED_PAD src0_sel:WORD_1 src1_sel:DWORD
	v_lshrrev_b32_e32 v82, 16, v90
	v_fmac_f16_e32 v40, v35, v85
	v_fmac_f16_e32 v34, v32, v87
	v_add_f16_e32 v32, v94, v92
	v_add_f16_e32 v81, v0, v98
	;; [unrolled: 1-line block ×3, first 2 shown]
	v_fmac_f16_e32 v42, v33, v84
	v_add_f16_e32 v33, v100, v94
	v_sub_f16_e32 v35, v94, v92
	v_add_f16_e32 v84, v102, v0
	v_add_f16_e32 v87, v36, v80
	;; [unrolled: 1-line block ×3, first 2 shown]
	v_fmac_f16_e32 v100, -0.5, v32
	v_add_f16_e32 v32, v83, v43
	v_fmac_f16_e32 v102, -0.5, v81
	v_add_f16_e32 v81, v101, v37
	;; [unrolled: 2-line block ×3, first 2 shown]
	v_sub_f16_e32 v101, v101, v37
	v_sub_f16_e32 v43, v43, v96
	v_fmac_f16_e32 v83, -0.5, v94
	v_add_f16_e32 v94, v95, v40
	v_fmac_f16_e32 v82, -0.5, v81
	v_add_f16_e32 v81, v89, v95
	v_sub_f16_e32 v95, v95, v40
	v_add_f16_e32 v37, v85, v37
	v_add_f16_e32 v85, v34, v42
	;; [unrolled: 1-line block ×4, first 2 shown]
	v_sub_f16_e32 v34, v34, v42
	v_sub_f16_e32 v80, v80, v39
	v_add_f16_e32 v39, v87, v39
	v_add_f16_e32 v87, v93, v104
	v_sub_f16_e32 v0, v0, v98
	v_add_f16_e32 v84, v84, v98
	v_add_f16_e32 v98, v86, v93
	v_sub_f16_e32 v93, v93, v104
	v_fmac_f16_e32 v89, -0.5, v94
	v_fmamk_f16 v94, v95, 0x3aee, v102
	v_fmac_f16_e32 v102, 0xbaee, v95
	v_add_f16_e32 v95, v90, v99
	v_add_f16_e32 v42, v96, v42
	v_fmamk_f16 v96, v34, 0x3aee, v36
	v_fmac_f16_e32 v36, 0xbaee, v34
	v_sub_f16_e32 v34, v99, v38
	v_add_f16_e32 v99, v99, v38
	v_add_f16_e32 v33, v33, v92
	;; [unrolled: 1-line block ×3, first 2 shown]
	v_fmac_f16_e32 v86, -0.5, v87
	v_fma_f16 v85, -0.5, v85, v88
	v_fmamk_f16 v87, v93, 0x3aee, v100
	v_fmac_f16_e32 v100, 0xbaee, v93
	v_add_f16_e32 v93, v91, v41
	v_sub_f16_e32 v41, v41, v97
	v_add_f16_e32 v38, v95, v38
	v_fma_f16 v90, -0.5, v99, v90
	v_fmac_f16_e32 v91, -0.5, v92
	v_fmamk_f16 v92, v35, 0xbaee, v86
	v_fmac_f16_e32 v86, 0x3aee, v35
	v_fmamk_f16 v35, v0, 0xbaee, v89
	v_fmac_f16_e32 v89, 0x3aee, v0
	v_pack_b32_f16 v0, v42, v39
	v_fmamk_f16 v39, v80, 0xbaee, v85
	v_fmac_f16_e32 v85, 0x3aee, v80
	v_add_f16_e32 v40, v81, v40
	v_fmamk_f16 v81, v41, 0x3aee, v83
	v_fmac_f16_e32 v83, 0xbaee, v41
	v_fmamk_f16 v41, v34, 0x3aee, v82
	v_pack_b32_f16 v37, v38, v37
	v_fmamk_f16 v38, v101, 0xbaee, v90
	v_fmac_f16_e32 v82, 0xbaee, v34
	v_add_f16_e32 v34, v93, v97
	v_add_f16_e32 v88, v98, v104
	v_fmamk_f16 v42, v43, 0xbaee, v91
	v_fmac_f16_e32 v91, 0x3aee, v43
	v_fmac_f16_e32 v90, 0x3aee, v101
	v_pack_b32_f16 v39, v39, v96
	v_pack_b32_f16 v36, v85, v36
	;; [unrolled: 1-line block ×13, first 2 shown]
	ds_write2_b32 v75, v0, v39 offset1:5
	ds_write_b32 v75, v36 offset:40
	ds_write2_b32 v78, v40, v35 offset1:5
	ds_write_b32 v78, v43 offset:40
	;; [unrolled: 2-line block ×5, first 2 shown]
	s_waitcnt lgkmcnt(0)
	s_barrier
	buffer_gl0_inv
	ds_read_b32 v36, v63 offset:1512
	v_mad_u64_u32 v[34:35], null, s31, v1, v[45:46]
	v_mov_b32_e32 v35, v47
	ds_read2_b32 v[32:33], v63 offset0:216 offset1:243
	ds_read2_b32 v[0:1], v65 offset0:68 offset1:95
	ds_read2_b32 v[37:38], v63 offset0:162 offset1:189
	s_mov_b32 s30, 0x30abee4d
	s_mov_b32 s31, 0x3f643a27
	v_mov_b32_e32 v45, v34
	s_waitcnt lgkmcnt(3)
	v_mad_u64_u32 v[39:40], null, s29, v64, v[35:36]
	ds_read2_b32 v[34:35], v65 offset0:14 offset1:41
	ds_read2_b32 v[40:41], v63 offset0:108 offset1:135
	ds_read2_b32 v[42:43], v63 offset1:27
	ds_read2_b32 v[75:76], v63 offset0:54 offset1:81
	v_lshrrev_b32_e32 v47, 16, v36
	v_mul_f16_sdwa v64, v7, v36 dst_sel:DWORD dst_unused:UNUSED_PAD src0_sel:WORD_1 src1_sel:DWORD
	s_waitcnt lgkmcnt(6)
	v_lshrrev_b32_e32 v77, 16, v33
	v_mul_f16_sdwa v78, v6, v33 dst_sel:DWORD dst_unused:UNUSED_PAD src0_sel:WORD_1 src1_sel:DWORD
	v_lshrrev_b32_e32 v79, 16, v32
	v_mul_f16_sdwa v80, v10, v32 dst_sel:DWORD dst_unused:UNUSED_PAD src0_sel:WORD_1 src1_sel:DWORD
	s_waitcnt lgkmcnt(5)
	v_lshrrev_b32_e32 v81, 16, v1
	v_mul_f16_sdwa v82, v11, v1 dst_sel:DWORD dst_unused:UNUSED_PAD src0_sel:WORD_1 src1_sel:DWORD
	;; [unrolled: 5-line block ×3, first 2 shown]
	v_lshrrev_b32_e32 v87, 16, v37
	v_mul_f16_sdwa v88, v4, v37 dst_sel:DWORD dst_unused:UNUSED_PAD src0_sel:WORD_1 src1_sel:DWORD
	v_mul_f16_sdwa v100, v7, v47 dst_sel:DWORD dst_unused:UNUSED_PAD src0_sel:WORD_1 src1_sel:DWORD
	v_fma_f16 v47, v7, v47, -v64
	s_waitcnt lgkmcnt(3)
	v_lshrrev_b32_e32 v89, 16, v35
	v_mul_f16_sdwa v90, v5, v35 dst_sel:DWORD dst_unused:UNUSED_PAD src0_sel:WORD_1 src1_sel:DWORD
	v_lshrrev_b32_e32 v91, 16, v34
	v_mul_f16_sdwa v92, v3, v34 dst_sel:DWORD dst_unused:UNUSED_PAD src0_sel:WORD_1 src1_sel:DWORD
	s_waitcnt lgkmcnt(2)
	v_lshrrev_b32_e32 v93, 16, v41
	v_mul_f16_sdwa v94, v2, v41 dst_sel:DWORD dst_unused:UNUSED_PAD src0_sel:WORD_1 src1_sel:DWORD
	s_waitcnt lgkmcnt(1)
	v_lshrrev_b32_e32 v96, 16, v43
	s_waitcnt lgkmcnt(0)
	v_lshrrev_b32_e32 v99, 16, v75
	v_mul_f16_sdwa v64, v6, v77 dst_sel:DWORD dst_unused:UNUSED_PAD src0_sel:WORD_1 src1_sel:DWORD
	v_fma_f16 v77, v6, v77, -v78
	v_mul_f16_sdwa v78, v10, v79 dst_sel:DWORD dst_unused:UNUSED_PAD src0_sel:WORD_1 src1_sel:DWORD
	v_mul_f16_sdwa v101, v11, v81 dst_sel:DWORD dst_unused:UNUSED_PAD src0_sel:WORD_1 src1_sel:DWORD
	v_fma_f16 v79, v10, v79, -v80
	v_fma_f16 v80, v11, v81, -v82
	v_mul_f16_sdwa v81, v9, v83 dst_sel:DWORD dst_unused:UNUSED_PAD src0_sel:WORD_1 src1_sel:DWORD
	v_fma_f16 v82, v9, v83, -v84
	v_fma_f16 v83, v8, v85, -v86
	v_mul_f16_sdwa v84, v8, v85 dst_sel:DWORD dst_unused:UNUSED_PAD src0_sel:WORD_1 src1_sel:DWORD
	v_mul_f16_sdwa v85, v4, v87 dst_sel:DWORD dst_unused:UNUSED_PAD src0_sel:WORD_1 src1_sel:DWORD
	;; [unrolled: 1-line block ×3, first 2 shown]
	v_fma_f16 v87, v4, v87, -v88
	v_fma_f16 v88, v5, v89, -v90
	v_mul_f16_sdwa v89, v3, v91 dst_sel:DWORD dst_unused:UNUSED_PAD src0_sel:WORD_1 src1_sel:DWORD
	v_mul_f16_sdwa v90, v2, v93 dst_sel:DWORD dst_unused:UNUSED_PAD src0_sel:WORD_1 src1_sel:DWORD
	v_fma_f16 v91, v3, v91, -v92
	v_fma_f16 v92, v2, v93, -v94
	v_lshrrev_b32_e32 v95, 16, v40
	v_lshrrev_b32_e32 v97, 16, v42
	v_fmac_f16_e32 v100, v7, v36
	v_fmac_f16_e32 v64, v6, v33
	;; [unrolled: 1-line block ×7, first 2 shown]
	v_add_f16_e32 v3, v87, v88
	v_add_f16_e32 v4, v96, v87
	;; [unrolled: 1-line block ×4, first 2 shown]
	v_lshrrev_b32_e32 v98, 16, v76
	v_fmac_f16_e32 v101, v11, v1
	v_fmac_f16_e32 v81, v9, v0
	;; [unrolled: 1-line block ×3, first 2 shown]
	v_add_f16_e32 v0, v77, v47
	v_add_f16_e32 v9, v79, v80
	;; [unrolled: 1-line block ×5, first 2 shown]
	v_fmac_f16_e32 v96, -0.5, v3
	v_fmac_f16_e32 v97, -0.5, v6
	v_add_f16_e32 v3, v4, v88
	v_add_f16_e32 v4, v64, v100
	;; [unrolled: 1-line block ×5, first 2 shown]
	v_sub_f16_e32 v2, v77, v47
	v_add_f16_e32 v10, v98, v79
	v_fmac_f16_e32 v95, -0.5, v0
	v_fmac_f16_e32 v98, -0.5, v9
	v_sub_f16_e32 v9, v64, v100
	v_sub_f16_e32 v35, v85, v86
	;; [unrolled: 1-line block ×3, first 2 shown]
	v_add_f16_e32 v41, v78, v101
	v_add_f16_e32 v77, v84, v81
	v_sub_f16_e32 v5, v87, v88
	v_sub_f16_e32 v8, v92, v91
	v_add_f16_e32 v0, v7, v91
	v_add_f16_e32 v7, v40, v64
	v_fmac_f16_e32 v99, -0.5, v33
	v_add_f16_e32 v33, v43, v85
	v_add_f16_e32 v1, v1, v47
	;; [unrolled: 1-line block ×3, first 2 shown]
	v_sub_f16_e32 v47, v78, v101
	v_add_f16_e32 v64, v76, v78
	v_fmac_f16_e32 v40, -0.5, v4
	v_fmac_f16_e32 v43, -0.5, v32
	v_fma_f16 v36, -0.5, v36, v42
	v_sub_f16_e32 v11, v79, v80
	v_sub_f16_e32 v34, v83, v82
	v_add_f16_e32 v78, v75, v84
	v_sub_f16_e32 v79, v84, v81
	v_fmamk_f16 v4, v9, 0x3aee, v95
	v_fmac_f16_e32 v95, 0xbaee, v9
	v_fmamk_f16 v9, v35, 0x3aee, v96
	v_fmac_f16_e32 v96, 0xbaee, v35
	;; [unrolled: 2-line block ×3, first 2 shown]
	v_fmac_f16_e32 v76, -0.5, v41
	v_fma_f16 v38, -0.5, v77, v75
	v_add_f16_e32 v32, v37, v89
	v_fmamk_f16 v37, v47, 0x3aee, v98
	v_fmac_f16_e32 v98, 0xbaee, v47
	v_add_f16_e32 v47, v64, v101
	v_fmamk_f16 v64, v2, 0xbaee, v40
	v_fmac_f16_e32 v40, 0x3aee, v2
	v_fmamk_f16 v2, v5, 0xbaee, v43
	v_fmac_f16_e32 v43, 0x3aee, v5
	v_fmamk_f16 v5, v8, 0xbaee, v36
	v_add_f16_e32 v33, v33, v86
	v_fmac_f16_e32 v36, 0x3aee, v8
	v_add_f16_e32 v41, v78, v81
	v_fmamk_f16 v42, v79, 0x3aee, v99
	v_fmamk_f16 v8, v11, 0xbaee, v76
	v_fmac_f16_e32 v76, 0x3aee, v11
	v_fmamk_f16 v11, v34, 0xbaee, v38
	v_add_f16_e32 v10, v10, v80
	v_fmac_f16_e32 v99, 0xbaee, v79
	v_add_f16_e32 v7, v7, v100
	v_pack_b32_f16 v0, v32, v0
	v_fmac_f16_e32 v38, 0x3aee, v34
	v_pack_b32_f16 v5, v5, v35
	v_pack_b32_f16 v3, v33, v3
	;; [unrolled: 1-line block ×8, first 2 shown]
	s_barrier
	buffer_gl0_inv
	v_pack_b32_f16 v10, v47, v10
	v_pack_b32_f16 v1, v7, v1
	;; [unrolled: 1-line block ×6, first 2 shown]
	ds_write2_b32 v66, v0, v5 offset1:15
	ds_write_b32 v66, v33 offset:120
	ds_write2_b32 v67, v3, v2 offset1:15
	ds_write_b32 v67, v32 offset:120
	ds_write2_b32 v70, v6, v9 offset1:15
	ds_write_b32 v70, v11 offset:120
	ds_write2_b32 v69, v10, v8 offset1:15
	ds_write_b32 v69, v34 offset:120
	ds_write2_b32 v68, v1, v4 offset1:15
	ds_write_b32 v68, v7 offset:120
	v_lshlrev_b64 v[4:5], 2, v[44:45]
	s_waitcnt lgkmcnt(0)
	s_barrier
	buffer_gl0_inv
	ds_read2_b32 v[0:1], v63 offset0:216 offset1:243
	ds_read_b32 v36, v63 offset:1512
	ds_read2_b32 v[2:3], v63 offset0:162 offset1:189
	ds_read2_b32 v[6:7], v65 offset0:68 offset1:95
	v_add_co_u32 v37, vcc_lo, s0, v4
	v_add_co_ci_u32_e32 v38, vcc_lo, s1, v5, vcc_lo
	ds_read2_b32 v[4:5], v65 offset0:14 offset1:41
	ds_read2_b32 v[10:11], v63 offset0:108 offset1:135
	ds_read2_b32 v[32:33], v63 offset1:27
	ds_read2_b32 v[34:35], v63 offset0:54 offset1:81
	v_mov_b32_e32 v47, v39
	s_waitcnt lgkmcnt(0)
	s_barrier
	buffer_gl0_inv
	s_mul_i32 s0, s29, 0xfffffb5c
	v_lshlrev_b64 v[8:9], 2, v[46:47]
	s_sub_i32 s29, s0, s28
	v_lshrrev_b32_e32 v44, 16, v0
	v_lshrrev_b32_e32 v40, 16, v36
	v_mul_f16_sdwa v43, v17, v36 dst_sel:DWORD dst_unused:UNUSED_PAD src0_sel:WORD_1 src1_sel:DWORD
	v_lshrrev_b32_e32 v45, 16, v7
	v_mul_f16_sdwa v46, v20, v0 dst_sel:DWORD dst_unused:UNUSED_PAD src0_sel:WORD_1 src1_sel:DWORD
	v_mul_f16_sdwa v47, v21, v7 dst_sel:DWORD dst_unused:UNUSED_PAD src0_sel:WORD_1 src1_sel:DWORD
	v_lshrrev_b32_e32 v64, 16, v6
	v_mul_f16_sdwa v67, v19, v6 dst_sel:DWORD dst_unused:UNUSED_PAD src0_sel:WORD_1 src1_sel:DWORD
	v_lshrrev_b32_e32 v68, 16, v2
	v_lshrrev_b32_e32 v69, 16, v5
	v_mul_f16_sdwa v70, v14, v2 dst_sel:DWORD dst_unused:UNUSED_PAD src0_sel:WORD_1 src1_sel:DWORD
	v_mul_f16_sdwa v75, v15, v5 dst_sel:DWORD dst_unused:UNUSED_PAD src0_sel:WORD_1 src1_sel:DWORD
	v_lshrrev_b32_e32 v76, 16, v4
	v_mul_f16_sdwa v77, v13, v4 dst_sel:DWORD dst_unused:UNUSED_PAD src0_sel:WORD_1 src1_sel:DWORD
	v_lshrrev_b32_e32 v78, 16, v11
	;; [unrolled: 2-line block ×4, first 2 shown]
	v_mul_f16_sdwa v66, v18, v3 dst_sel:DWORD dst_unused:UNUSED_PAD src0_sel:WORD_1 src1_sel:DWORD
	v_mul_f16_sdwa v85, v17, v40 dst_sel:DWORD dst_unused:UNUSED_PAD src0_sel:WORD_1 src1_sel:DWORD
	v_fma_f16 v40, v17, v40, -v43
	v_mul_f16_sdwa v43, v20, v44 dst_sel:DWORD dst_unused:UNUSED_PAD src0_sel:WORD_1 src1_sel:DWORD
	v_fma_f16 v44, v20, v44, -v46
	;; [unrolled: 2-line block ×7, first 2 shown]
	v_fma_f16 v77, v12, v78, -v79
	v_mul_f16_sdwa v78, v12, v78 dst_sel:DWORD dst_unused:UNUSED_PAD src0_sel:WORD_1 src1_sel:DWORD
	v_fma_f16 v41, v16, v39, -v41
	v_mul_f16_sdwa v39, v16, v39 dst_sel:DWORD dst_unused:UNUSED_PAD src0_sel:WORD_1 src1_sel:DWORD
	v_lshrrev_b32_e32 v81, 16, v33
	v_lshrrev_b32_e32 v82, 16, v34
	;; [unrolled: 1-line block ×3, first 2 shown]
	v_fma_f16 v66, v18, v42, -v66
	v_mul_f16_sdwa v42, v18, v42 dst_sel:DWORD dst_unused:UNUSED_PAD src0_sel:WORD_1 src1_sel:DWORD
	v_lshrrev_b32_e32 v83, 16, v35
	v_fmac_f16_e32 v75, v13, v4
	v_fmac_f16_e32 v78, v12, v11
	v_add_f16_e32 v13, v44, v45
	v_fmac_f16_e32 v39, v16, v1
	v_fmac_f16_e32 v67, v14, v2
	;; [unrolled: 1-line block ×3, first 2 shown]
	v_add_f16_e32 v16, v41, v40
	v_lshrrev_b32_e32 v80, 16, v32
	v_fmac_f16_e32 v85, v17, v36
	v_fmac_f16_e32 v43, v20, v0
	;; [unrolled: 1-line block ×5, first 2 shown]
	v_add_f16_e32 v1, v77, v76
	v_add_f16_e32 v3, v81, v68
	;; [unrolled: 1-line block ×7, first 2 shown]
	v_fmac_f16_e32 v83, -0.5, v13
	v_add_f16_e32 v13, v78, v75
	v_fmac_f16_e32 v84, -0.5, v16
	v_add_f16_e32 v16, v67, v70
	v_add_f16_e32 v0, v80, v77
	v_sub_f16_e32 v17, v41, v40
	v_fmac_f16_e32 v80, -0.5, v1
	v_add_f16_e32 v1, v3, v69
	v_add_f16_e32 v3, v6, v64
	;; [unrolled: 1-line block ×6, first 2 shown]
	v_sub_f16_e32 v41, v43, v46
	v_add_f16_e32 v43, v39, v85
	v_sub_f16_e32 v2, v77, v76
	v_fmac_f16_e32 v81, -0.5, v4
	v_fmac_f16_e32 v82, -0.5, v7
	v_add_f16_e32 v4, v12, v45
	v_add_f16_e32 v7, v32, v78
	v_sub_f16_e32 v12, v78, v75
	v_fma_f16 v13, -0.5, v13, v32
	v_add_f16_e32 v15, v33, v67
	v_sub_f16_e32 v5, v68, v69
	v_sub_f16_e32 v18, v67, v70
	v_fmac_f16_e32 v33, -0.5, v16
	v_sub_f16_e32 v11, v66, v64
	v_sub_f16_e32 v14, v44, v45
	v_add_f16_e32 v19, v34, v42
	v_sub_f16_e32 v20, v42, v47
	v_add_f16_e32 v42, v10, v39
	v_sub_f16_e32 v39, v39, v85
	v_fmac_f16_e32 v35, -0.5, v40
	v_fmac_f16_e32 v10, -0.5, v43
	v_fma_f16 v21, -0.5, v21, v34
	v_add_f16_e32 v0, v0, v76
	v_add_f16_e32 v7, v7, v75
	v_fmamk_f16 v44, v12, 0x3aee, v80
	v_fmamk_f16 v34, v2, 0xbaee, v13
	v_fmac_f16_e32 v80, 0xbaee, v12
	v_add_f16_e32 v12, v15, v70
	v_fmac_f16_e32 v13, 0x3aee, v2
	v_fmamk_f16 v15, v18, 0x3aee, v81
	v_fmamk_f16 v2, v5, 0xbaee, v33
	v_fmac_f16_e32 v81, 0xbaee, v18
	v_fmac_f16_e32 v33, 0x3aee, v5
	v_add_f16_e32 v16, v19, v47
	v_fmamk_f16 v18, v20, 0x3aee, v82
	v_fmac_f16_e32 v82, 0xbaee, v20
	v_add_f16_e32 v19, v36, v46
	v_fmamk_f16 v20, v41, 0x3aee, v83
	v_add_f16_e32 v36, v42, v85
	v_fmamk_f16 v32, v39, 0x3aee, v84
	v_fmac_f16_e32 v84, 0xbaee, v39
	v_fmamk_f16 v5, v11, 0xbaee, v21
	v_fmac_f16_e32 v21, 0x3aee, v11
	;; [unrolled: 2-line block ×4, first 2 shown]
	v_fmac_f16_e32 v83, 0xbaee, v41
	v_pack_b32_f16 v0, v7, v0
	v_pack_b32_f16 v7, v34, v44
	;; [unrolled: 1-line block ×15, first 2 shown]
	ds_write2_b32 v63, v0, v7 offset1:45
	ds_write_b32 v63, v12 offset:360
	ds_write2_b32 v71, v1, v2 offset1:45
	ds_write_b32 v71, v13 offset:360
	ds_write2_b32 v63, v3, v5 offset0:144 offset1:189
	ds_write_b32 v63, v15 offset:936
	ds_write2_b32 v72, v4, v11 offset1:45
	ds_write_b32 v72, v16 offset:360
	ds_write2_b32 v74, v6, v14 offset0:14 offset1:59
	ds_write_b32 v73, v10 offset:1440
	s_waitcnt lgkmcnt(0)
	s_barrier
	buffer_gl0_inv
	ds_read2_b32 v[0:1], v63 offset1:27
	ds_read2_b32 v[2:3], v63 offset0:108 offset1:135
	ds_read2_b32 v[4:5], v65 offset0:14 offset1:41
	;; [unrolled: 1-line block ×6, first 2 shown]
	ds_read_b32 v20, v63 offset:1512
	v_add_co_u32 v8, vcc_lo, v37, v8
	v_add_co_ci_u32_e32 v9, vcc_lo, v38, v9, vcc_lo
	v_add_co_u32 v14, vcc_lo, v8, s27
	v_add_co_ci_u32_e32 v15, vcc_lo, s33, v9, vcc_lo
	v_add_co_u32 v16, vcc_lo, v14, s27
	s_waitcnt lgkmcnt(7)
	v_lshrrev_b32_e32 v21, 16, v0
	s_waitcnt lgkmcnt(6)
	v_lshrrev_b32_e32 v32, 16, v3
	;; [unrolled: 2-line block ×3, first 2 shown]
	v_mul_f16_sdwa v40, v26, v3 dst_sel:DWORD dst_unused:UNUSED_PAD src0_sel:WORD_1 src1_sel:DWORD
	s_waitcnt lgkmcnt(4)
	v_lshrrev_b32_e32 v35, 16, v6
	v_lshrrev_b32_e32 v36, 16, v5
	;; [unrolled: 1-line block ×3, first 2 shown]
	s_waitcnt lgkmcnt(2)
	v_lshrrev_b32_e32 v39, 16, v12
	v_mul_f16_sdwa v43, v27, v4 dst_sel:DWORD dst_unused:UNUSED_PAD src0_sel:WORD_1 src1_sel:DWORD
	v_mul_f16_sdwa v44, v24, v6 dst_sel:DWORD dst_unused:UNUSED_PAD src0_sel:WORD_1 src1_sel:DWORD
	v_mul_f16_sdwa v45, v25, v5 dst_sel:DWORD dst_unused:UNUSED_PAD src0_sel:WORD_1 src1_sel:DWORD
	s_waitcnt lgkmcnt(1)
	v_lshrrev_b32_e32 v42, 16, v18
	v_lshrrev_b32_e32 v46, 16, v13
	;; [unrolled: 1-line block ×3, first 2 shown]
	s_waitcnt lgkmcnt(0)
	v_lshrrev_b32_e32 v64, 16, v20
	v_mul_f16_sdwa v66, v30, v7 dst_sel:DWORD dst_unused:UNUSED_PAD src0_sel:WORD_1 src1_sel:DWORD
	v_mul_f16_sdwa v67, v31, v12 dst_sel:DWORD dst_unused:UNUSED_PAD src0_sel:WORD_1 src1_sel:DWORD
	v_mul_f16_sdwa v68, v28, v18 dst_sel:DWORD dst_unused:UNUSED_PAD src0_sel:WORD_1 src1_sel:DWORD
	v_mul_f16_sdwa v69, v29, v13 dst_sel:DWORD dst_unused:UNUSED_PAD src0_sel:WORD_1 src1_sel:DWORD
	v_mul_f16_sdwa v73, v26, v32 dst_sel:DWORD dst_unused:UNUSED_PAD src0_sel:WORD_1 src1_sel:DWORD
	v_fma_f16 v32, v26, v32, -v40
	v_mul_f16_sdwa v40, v27, v33 dst_sel:DWORD dst_unused:UNUSED_PAD src0_sel:WORD_1 src1_sel:DWORD
	v_fma_f16 v33, v27, v33, -v43
	v_mul_f16_sdwa v43, v25, v36 dst_sel:DWORD dst_unused:UNUSED_PAD src0_sel:WORD_1 src1_sel:DWORD
	;; [unrolled: 2-line block ×4, first 2 shown]
	v_mul_f16_sdwa v74, v31, v39 dst_sel:DWORD dst_unused:UNUSED_PAD src0_sel:WORD_1 src1_sel:DWORD
	v_lshrrev_b32_e32 v34, 16, v1
	v_mul_f16_sdwa v70, v22, v19 dst_sel:DWORD dst_unused:UNUSED_PAD src0_sel:WORD_1 src1_sel:DWORD
	v_mul_f16_sdwa v71, v23, v20 dst_sel:DWORD dst_unused:UNUSED_PAD src0_sel:WORD_1 src1_sel:DWORD
	v_fma_f16 v38, v30, v38, -v66
	v_fma_f16 v39, v31, v39, -v67
	v_mul_f16_sdwa v66, v28, v42 dst_sel:DWORD dst_unused:UNUSED_PAD src0_sel:WORD_1 src1_sel:DWORD
	v_fma_f16 v42, v28, v42, -v68
	v_mul_f16_sdwa v67, v29, v46 dst_sel:DWORD dst_unused:UNUSED_PAD src0_sel:WORD_1 src1_sel:DWORD
	v_fma_f16 v46, v29, v46, -v69
	v_mul_f16_sdwa v68, v22, v47 dst_sel:DWORD dst_unused:UNUSED_PAD src0_sel:WORD_1 src1_sel:DWORD
	v_mul_f16_sdwa v69, v23, v64 dst_sel:DWORD dst_unused:UNUSED_PAD src0_sel:WORD_1 src1_sel:DWORD
	v_fmac_f16_e32 v73, v26, v3
	v_fmac_f16_e32 v40, v27, v4
	;; [unrolled: 1-line block ×6, first 2 shown]
	v_fma_f16 v47, v22, v47, -v70
	v_fma_f16 v64, v23, v64, -v71
	v_fmac_f16_e32 v66, v28, v18
	v_fmac_f16_e32 v67, v29, v13
	;; [unrolled: 1-line block ×4, first 2 shown]
	v_add_f16_e32 v4, v21, v32
	v_add_f16_e32 v7, v34, v44
	v_lshrrev_b32_e32 v37, 16, v10
	v_add_f16_e32 v5, v32, v33
	v_add_f16_e32 v12, v44, v36
	;; [unrolled: 1-line block ×6, first 2 shown]
	v_lshrrev_b32_e32 v41, 16, v11
	v_lshrrev_b32_e32 v72, 16, v2
	v_sub_f16_e32 v3, v32, v33
	v_sub_f16_e32 v6, v44, v36
	v_add_f16_e32 v23, v42, v46
	v_add_f16_e32 v26, v47, v64
	;; [unrolled: 1-line block ×7, first 2 shown]
	v_fmac_f16_e32 v21, -0.5, v5
	v_add_f16_e32 v5, v0, v73
	v_sub_f16_e32 v28, v73, v40
	v_fmac_f16_e32 v34, -0.5, v12
	v_add_f16_e32 v12, v1, v35
	v_fmac_f16_e32 v37, -0.5, v19
	v_add_f16_e32 v19, v10, v45
	v_fma_f16 v0, -0.5, v27, v0
	v_sub_f16_e32 v13, v38, v39
	v_sub_f16_e32 v30, v35, v43
	;; [unrolled: 1-line block ×3, first 2 shown]
	v_fmac_f16_e32 v1, -0.5, v29
	v_fma_f16 v10, -0.5, v31, v10
	v_sub_f16_e32 v20, v42, v46
	v_add_f16_e32 v22, v41, v42
	v_sub_f16_e32 v24, v47, v64
	v_add_f16_e32 v25, v72, v47
	v_fmac_f16_e32 v41, -0.5, v23
	v_add_f16_e32 v23, v11, v66
	v_fmac_f16_e32 v72, -0.5, v26
	v_add_f16_e32 v26, v2, v68
	v_sub_f16_e32 v38, v68, v69
	v_fmac_f16_e32 v11, -0.5, v33
	v_fmac_f16_e32 v2, -0.5, v36
	v_add_f16_e32 v18, v18, v39
	v_sub_f16_e32 v35, v66, v67
	v_add_f16_e32 v5, v5, v40
	v_fmamk_f16 v39, v28, 0x3aee, v21
	v_add_f16_e32 v12, v12, v43
	v_add_f16_e32 v19, v19, v74
	v_fmamk_f16 v31, v3, 0xbaee, v0
	v_fmac_f16_e32 v21, 0xbaee, v28
	v_fmac_f16_e32 v0, 0x3aee, v3
	v_fmamk_f16 v27, v30, 0x3aee, v34
	v_fmamk_f16 v28, v32, 0x3aee, v37
	;; [unrolled: 1-line block ×3, first 2 shown]
	v_fmac_f16_e32 v1, 0x3aee, v6
	v_fmamk_f16 v6, v13, 0xbaee, v10
	v_fmac_f16_e32 v34, 0xbaee, v30
	v_fmac_f16_e32 v37, 0xbaee, v32
	v_fmamk_f16 v30, v38, 0x3aee, v72
	v_fmac_f16_e32 v72, 0xbaee, v38
	;; [unrolled: 3-line block ×3, first 2 shown]
	v_fmamk_f16 v20, v24, 0xbaee, v2
	v_fmac_f16_e32 v2, 0x3aee, v24
	v_add_f16_e32 v22, v22, v46
	v_add_f16_e32 v25, v25, v64
	;; [unrolled: 1-line block ×3, first 2 shown]
	v_fmamk_f16 v29, v35, 0x3aee, v41
	v_fmac_f16_e32 v41, 0xbaee, v35
	v_add_f16_e32 v26, v26, v69
	v_pack_b32_f16 v4, v5, v4
	v_pack_b32_f16 v5, v12, v7
	;; [unrolled: 1-line block ×15, first 2 shown]
	ds_write_b32 v63, v19 offset:540
	ds_write_b32 v63, v0 offset:1080
	ds_write2_b32 v63, v4, v5 offset1:27
	ds_write2_b32 v63, v3, v6 offset0:162 offset1:189
	ds_write2_b32 v65, v1, v10 offset0:41 offset1:68
	;; [unrolled: 1-line block ×3, first 2 shown]
	ds_write_b32 v63, v11 offset:1404
	ds_write_b32 v63, v18 offset:432
	ds_write2_b32 v63, v13, v20 offset0:216 offset1:243
	ds_write_b32 v63, v2 offset:1512
	s_waitcnt lgkmcnt(0)
	s_barrier
	buffer_gl0_inv
	ds_read2_b32 v[22:23], v63 offset1:27
	ds_read2_b32 v[6:7], v63 offset0:54 offset1:81
	ds_read2_b32 v[24:25], v63 offset0:162 offset1:189
	;; [unrolled: 1-line block ×6, first 2 shown]
	v_add_co_ci_u32_e32 v17, vcc_lo, s33, v15, vcc_lo
	v_add_co_u32 v20, vcc_lo, v16, s27
	v_add_co_ci_u32_e32 v21, vcc_lo, s33, v17, vcc_lo
	v_add_co_u32 v18, vcc_lo, v20, s27
	v_add_co_ci_u32_e32 v19, vcc_lo, s33, v21, vcc_lo
	s_waitcnt lgkmcnt(6)
	v_lshrrev_b32_e32 v26, 16, v22
	v_mul_f16_sdwa v27, v55, v22 dst_sel:DWORD dst_unused:UNUSED_PAD src0_sel:WORD_1 src1_sel:DWORD
	s_waitcnt lgkmcnt(5)
	v_lshrrev_b32_e32 v28, 16, v7
	v_mul_f16_sdwa v29, v56, v7 dst_sel:DWORD dst_unused:UNUSED_PAD src0_sel:WORD_1 src1_sel:DWORD
	s_waitcnt lgkmcnt(3)
	v_lshrrev_b32_e32 v32, 16, v3
	s_waitcnt lgkmcnt(2)
	v_lshrrev_b32_e32 v39, 16, v4
	v_mul_f16_sdwa v40, v61, v4 dst_sel:DWORD dst_unused:UNUSED_PAD src0_sel:WORD_1 src1_sel:DWORD
	v_fma_f16 v27, v55, v26, -v27
	v_lshrrev_b32_e32 v30, 16, v24
	v_mul_f16_sdwa v31, v57, v24 dst_sel:DWORD dst_unused:UNUSED_PAD src0_sel:WORD_1 src1_sel:DWORD
	v_lshrrev_b32_e32 v36, 16, v23
	v_mul_f16_sdwa v37, v60, v23 dst_sel:DWORD dst_unused:UNUSED_PAD src0_sel:WORD_1 src1_sel:DWORD
	v_fma_f16 v29, v56, v28, -v29
	v_mul_f16_sdwa v42, v55, v26 dst_sel:DWORD dst_unused:UNUSED_PAD src0_sel:WORD_1 src1_sel:DWORD
	v_fma_f16 v26, v61, v39, -v40
	v_mul_f16_sdwa v45, v58, v32 dst_sel:DWORD dst_unused:UNUSED_PAD src0_sel:WORD_1 src1_sel:DWORD
	v_mul_f16_sdwa v39, v61, v39 dst_sel:DWORD dst_unused:UNUSED_PAD src0_sel:WORD_1 src1_sel:DWORD
	v_cvt_f32_f16_e32 v27, v27
	v_mul_f16_sdwa v33, v58, v3 dst_sel:DWORD dst_unused:UNUSED_PAD src0_sel:WORD_1 src1_sel:DWORD
	v_lshrrev_b32_e32 v38, 16, v25
	v_fma_f16 v31, v57, v30, -v31
	v_fma_f16 v37, v60, v36, -v37
	v_mul_f16_sdwa v36, v60, v36 dst_sel:DWORD dst_unused:UNUSED_PAD src0_sel:WORD_1 src1_sel:DWORD
	v_cvt_f32_f16_e32 v29, v29
	v_fmac_f16_e32 v45, v58, v3
	v_fmac_f16_e32 v39, v61, v4
	v_cvt_f64_f32_e32 v[3:4], v27
	s_waitcnt lgkmcnt(1)
	v_lshrrev_b32_e32 v34, 16, v12
	v_mul_f16_sdwa v35, v59, v12 dst_sel:DWORD dst_unused:UNUSED_PAD src0_sel:WORD_1 src1_sel:DWORD
	v_fma_f16 v33, v58, v32, -v33
	v_mul_f16_sdwa v43, v57, v30 dst_sel:DWORD dst_unused:UNUSED_PAD src0_sel:WORD_1 src1_sel:DWORD
	v_mul_f16_sdwa v44, v62, v38 dst_sel:DWORD dst_unused:UNUSED_PAD src0_sel:WORD_1 src1_sel:DWORD
	v_cvt_f32_f16_e32 v30, v31
	v_fmac_f16_e32 v42, v55, v22
	v_fmac_f16_e32 v36, v60, v23
	v_cvt_f64_f32_e32 v[22:23], v29
	v_mul_f16_sdwa v41, v62, v25 dst_sel:DWORD dst_unused:UNUSED_PAD src0_sel:WORD_1 src1_sel:DWORD
	v_mul_f16_sdwa v40, v56, v28 dst_sel:DWORD dst_unused:UNUSED_PAD src0_sel:WORD_1 src1_sel:DWORD
	v_fma_f16 v35, v59, v34, -v35
	v_cvt_f32_f16_e32 v31, v33
	v_fmac_f16_e32 v43, v57, v24
	v_fmac_f16_e32 v44, v62, v25
	v_cvt_f64_f32_e32 v[24:25], v30
	v_mul_f16_sdwa v34, v59, v34 dst_sel:DWORD dst_unused:UNUSED_PAD src0_sel:WORD_1 src1_sel:DWORD
	v_fma_f16 v28, v62, v38, -v41
	v_fmac_f16_e32 v40, v56, v7
	v_cvt_f32_f16_e32 v32, v35
	v_cvt_f32_f16_e32 v35, v26
	v_cvt_f64_f32_e32 v[26:27], v31
	v_cvt_f32_f16_e32 v33, v37
	v_fmac_f16_e32 v34, v59, v12
	v_cvt_f32_f16_e32 v7, v28
	v_cvt_f32_f16_e32 v12, v42
	;; [unrolled: 1-line block ×5, first 2 shown]
	v_cvt_f64_f32_e32 v[28:29], v32
	v_cvt_f64_f32_e32 v[30:31], v33
	;; [unrolled: 1-line block ×3, first 2 shown]
	v_cvt_f32_f16_e32 v40, v43
	v_cvt_f32_f16_e32 v45, v34
	;; [unrolled: 1-line block ×3, first 2 shown]
	v_cvt_f64_f32_e32 v[34:35], v7
	v_cvt_f64_f32_e32 v[38:39], v38
	;; [unrolled: 1-line block ×4, first 2 shown]
	v_mul_f64 v[59:60], v[3:4], s[30:31]
	v_cvt_f32_f16_e32 v57, v44
	v_cvt_f64_f32_e32 v[36:37], v12
	v_cvt_f64_f32_e32 v[40:41], v40
	;; [unrolled: 1-line block ×4, first 2 shown]
	v_mul_f64 v[61:62], v[22:23], s[30:31]
	v_mul_f64 v[64:65], v[24:25], s[30:31]
	;; [unrolled: 1-line block ×3, first 2 shown]
	v_cvt_f64_f32_e32 v[57:58], v57
	s_waitcnt lgkmcnt(0)
	v_lshrrev_b32_e32 v7, 16, v0
	v_mad_u64_u32 v[10:11], null, 0xfffffb5c, s28, v[18:19]
	v_mul_f64 v[28:29], v[28:29], s[30:31]
	v_mul_f64 v[30:31], v[30:31], s[30:31]
	;; [unrolled: 1-line block ×3, first 2 shown]
	v_mul_f16_sdwa v12, v54, v7 dst_sel:DWORD dst_unused:UNUSED_PAD src0_sel:WORD_1 src1_sel:DWORD
	v_mul_f64 v[3:4], v[34:35], s[30:31]
	v_mul_f64 v[34:35], v[38:39], s[30:31]
	;; [unrolled: 1-line block ×4, first 2 shown]
	v_and_or_b32 v46, 0x1ff, v60, v59
	v_lshrrev_b32_e32 v47, 8, v60
	v_mul_f64 v[32:33], v[36:37], s[30:31]
	v_mul_f64 v[36:37], v[40:41], s[30:31]
	;; [unrolled: 1-line block ×4, first 2 shown]
	v_and_or_b32 v56, 0x1ff, v62, v61
	v_cmp_ne_u32_e32 vcc_lo, 0, v46
	v_and_or_b32 v59, 0x1ff, v65, v64
	v_and_or_b32 v26, 0x1ff, v27, v26
	v_mul_f64 v[22:23], v[57:58], s[30:31]
	v_bfe_u32 v55, v60, 20, 11
	v_cndmask_b32_e64 v46, 0, 1, vcc_lo
	v_cmp_ne_u32_e32 vcc_lo, 0, v56
	v_and_or_b32 v28, 0x1ff, v29, v28
	v_and_or_b32 v30, 0x1ff, v31, v30
	;; [unrolled: 1-line block ×3, first 2 shown]
	v_bfe_u32 v58, v62, 20, 11
	v_cndmask_b32_e64 v56, 0, 1, vcc_lo
	v_cmp_ne_u32_e32 vcc_lo, 0, v59
	v_and_or_b32 v34, 0x1ff, v35, v34
	v_and_or_b32 v38, 0x1ff, v39, v38
	;; [unrolled: 1-line block ×3, first 2 shown]
	v_lshrrev_b32_e32 v61, 8, v65
	v_cndmask_b32_e64 v59, 0, 1, vcc_lo
	v_cmp_ne_u32_e32 vcc_lo, 0, v26
	v_and_or_b32 v32, 0x1ff, v33, v32
	v_and_or_b32 v36, 0x1ff, v37, v36
	;; [unrolled: 1-line block ×4, first 2 shown]
	v_cndmask_b32_e64 v26, 0, 1, vcc_lo
	v_cmp_ne_u32_e32 vcc_lo, 0, v28
	v_bfe_u32 v64, v65, 20, 11
	v_lshrrev_b32_e32 v66, 8, v27
	v_bfe_u32 v67, v27, 20, 11
	v_and_or_b32 v24, 0x1ff, v4, v3
	v_cndmask_b32_e64 v28, 0, 1, vcc_lo
	v_cmp_ne_u32_e32 vcc_lo, 0, v30
	v_lshrrev_b32_e32 v94, 8, v45
	v_bfe_u32 v95, v45, 20, 11
	v_lshrrev_b32_e32 v3, 16, v45
	v_and_or_b32 v45, 0x1ff, v23, v22
	v_cndmask_b32_e64 v30, 0, 1, vcc_lo
	v_cmp_ne_u32_e32 vcc_lo, 0, v72
	v_lshrrev_b32_e32 v68, 8, v29
	v_bfe_u32 v69, v29, 20, 11
	v_bfe_u32 v74, v25, 20, 11
	v_sub_nc_u32_e32 v75, 0x3f1, v55
	v_cndmask_b32_e64 v72, 0, 1, vcc_lo
	v_cmp_ne_u32_e32 vcc_lo, 0, v32
	v_sub_nc_u32_e32 v76, 0x3f1, v58
	v_sub_nc_u32_e32 v77, 0x3f1, v64
	;; [unrolled: 1-line block ×3, first 2 shown]
	v_lshrrev_b32_e32 v82, 8, v33
	v_cndmask_b32_e64 v32, 0, 1, vcc_lo
	v_cmp_ne_u32_e32 vcc_lo, 0, v34
	v_bfe_u32 v89, v39, 20, 11
	v_bfe_u32 v91, v41, 20, 11
	v_and_or_b32 v59, 0xffe, v61, v59
	v_and_or_b32 v61, 0xffe, v66, v26
	v_cndmask_b32_e64 v34, 0, 1, vcc_lo
	v_cmp_ne_u32_e32 vcc_lo, 0, v36
	v_lshrrev_b32_e32 v70, 8, v31
	v_bfe_u32 v71, v31, 20, 11
	v_lshrrev_b32_e32 v73, 8, v25
	v_sub_nc_u32_e32 v79, 0x3f1, v69
	v_cndmask_b32_e64 v36, 0, 1, vcc_lo
	v_cmp_ne_u32_e32 vcc_lo, 0, v38
	v_sub_nc_u32_e32 v81, 0x3f1, v74
	v_lshrrev_b32_e32 v84, 8, v35
	v_lshrrev_b32_e32 v96, 8, v23
	v_add_nc_u32_e32 v22, 0xfffffc10, v74
	v_cndmask_b32_e64 v38, 0, 1, vcc_lo
	v_cmp_ne_u32_e32 vcc_lo, 0, v40
	v_med3_i32 v74, v75, 0, 13
	v_med3_i32 v75, v76, 0, 13
	;; [unrolled: 1-line block ×4, first 2 shown]
	v_cndmask_b32_e64 v40, 0, 1, vcc_lo
	v_cmp_ne_u32_e32 vcc_lo, 0, v42
	v_and_or_b32 v28, 0xffe, v68, v28
	v_sub_nc_u32_e32 v26, 0x3f1, v89
	v_sub_nc_u32_e32 v68, 0x3f1, v91
	v_and_or_b32 v32, 0xffe, v82, v32
	v_cndmask_b32_e64 v42, 0, 1, vcc_lo
	v_cmp_ne_u32_e32 vcc_lo, 0, v44
	v_or_b32_e32 v82, 0x1000, v61
	v_sub_nc_u32_e32 v80, 0x3f1, v71
	v_bfe_u32 v83, v33, 20, 11
	v_lshrrev_b32_e32 v86, 8, v37
	v_cndmask_b32_e64 v44, 0, 1, vcc_lo
	v_cmp_ne_u32_e32 vcc_lo, 0, v45
	v_lshrrev_b32_e32 v88, 8, v39
	v_med3_i32 v78, v79, 0, 13
	v_and_or_b32 v30, 0xffe, v70, v30
	v_and_or_b32 v66, 0xffe, v73, v72
	v_cndmask_b32_e64 v45, 0, 1, vcc_lo
	v_and_or_b32 v34, 0xffe, v84, v34
	v_or_b32_e32 v84, 0x1000, v28
	v_med3_i32 v101, v26, 0, 13
	v_lshrrev_b32_e32 v57, 8, v62
	v_and_or_b32 v26, 0xffe, v96, v45
	v_med3_i32 v45, v68, 0, 13
	v_lshrrev_b32_e32 v68, v77, v82
	v_bfe_u32 v85, v35, 20, 11
	v_med3_i32 v79, v80, 0, 13
	v_and_or_b32 v46, 0xffe, v47, v46
	v_med3_i32 v47, v81, 0, 13
	v_sub_nc_u32_e32 v80, 0x3f1, v83
	v_and_or_b32 v36, 0xffe, v86, v36
	v_or_b32_e32 v86, 0x1000, v30
	v_and_or_b32 v38, 0xffe, v88, v38
	v_or_b32_e32 v88, 0x1000, v66
	v_and_or_b32 v44, 0xffe, v94, v44
	v_lshrrev_b32_e32 v94, v78, v84
	v_lshlrev_b32_e32 v77, v77, v68
	v_sub_nc_u32_e32 v81, 0x3f1, v85
	v_and_or_b32 v56, 0xffe, v57, v56
	v_med3_i32 v80, v80, 0, 13
	v_lshrrev_b32_e32 v96, v79, v86
	v_lshlrev_b32_e32 v78, v78, v94
	v_cmp_ne_u32_e64 s0, v77, v82
	v_or_b32_e32 v77, 0x1000, v32
	v_lshrrev_b32_e32 v82, v47, v88
	v_lshrrev_b32_e32 v90, 8, v41
	v_or_b32_e32 v99, 0x1000, v56
	v_med3_i32 v81, v81, 0, 13
	v_lshlrev_b32_e32 v79, v79, v96
	v_cmp_ne_u32_e64 s1, v78, v84
	v_or_b32_e32 v78, 0x1000, v34
	v_lshrrev_b32_e32 v84, v80, v77
	v_lshlrev_b32_e32 v47, v47, v82
	v_bfe_u32 v87, v37, 20, 11
	v_and_or_b32 v40, 0xffe, v90, v40
	v_lshrrev_b32_e32 v90, v75, v99
	v_cmp_ne_u32_e64 s2, v79, v86
	v_lshrrev_b32_e32 v86, v81, v78
	v_lshlrev_b32_e32 v80, v80, v84
	v_cmp_ne_u32_e64 s3, v47, v88
	v_or_b32_e32 v47, 0x1000, v38
	v_sub_nc_u32_e32 v57, 0x3f1, v87
	v_lshlrev_b32_e32 v75, v75, v90
	v_lshlrev_b32_e32 v81, v81, v86
	v_cmp_ne_u32_e64 s4, v80, v77
	v_or_b32_e32 v77, 0x1000, v40
	v_lshrrev_b32_e32 v80, v101, v47
	v_add_nc_u32_e32 v72, 0xfffffc10, v83
	v_sub_nc_u32_e32 v83, 0x3f1, v95
	v_med3_i32 v57, v57, 0, 13
	v_cmp_ne_u32_e32 vcc_lo, v75, v99
	v_or_b32_e32 v79, 0x1000, v36
	v_cmp_ne_u32_e64 s5, v81, v78
	v_lshrrev_b32_e32 v81, v45, v77
	v_lshlrev_b32_e32 v99, v101, v80
	v_lshrrev_b32_e32 v92, 8, v43
	v_bfe_u32 v93, v43, 20, 11
	v_lshrrev_b32_e32 v88, v57, v79
	v_med3_i32 v83, v83, 0, 13
	v_lshlrev_b32_e32 v45, v45, v81
	v_cmp_ne_u32_e64 s7, v99, v47
	v_or_b32_e32 v47, 0x1000, v44
	v_add_nc_u32_e32 v55, 0xfffffc10, v55
	v_add_nc_u32_e32 v64, 0xfffffc10, v64
	v_sub_nc_u32_e32 v70, 0x3f1, v93
	v_and_or_b32 v42, 0xffe, v92, v42
	v_lshlrev_b32_e32 v57, v57, v88
	v_cmp_ne_u32_e64 s8, v45, v77
	v_lshrrev_b32_e32 v77, v83, v47
	v_cmp_ne_u32_e64 s10, 0, v46
	v_cmp_ne_u32_e64 s11, 0, v59
	v_add_nc_u32_e32 v58, 0xfffffc10, v58
	v_add_nc_u32_e32 v67, 0xfffffc10, v67
	v_or_b32_e32 v98, 0x1000, v46
	v_or_b32_e32 v100, 0x1000, v59
	v_lshl_or_b32 v92, v55, 12, v46
	v_med3_i32 v70, v70, 0, 13
	v_or_b32_e32 v78, 0x1000, v42
	v_cmp_ne_u32_e64 s6, v57, v79
	v_lshl_or_b32 v57, v64, 12, v59
	v_lshlrev_b32_e32 v83, v83, v77
	v_cndmask_b32_e64 v46, 0, 1, s10
	v_cmp_ne_u32_e64 s10, 0, v56
	v_cndmask_b32_e64 v59, 0, 1, s11
	v_cmp_ne_u32_e64 s11, 0, v61
	v_add_nc_u32_e32 v69, 0xfffffc10, v69
	v_lshl_or_b32 v75, v58, 12, v56
	v_lshrrev_b32_e32 v79, v70, v78
	v_lshl_or_b32 v99, v67, 12, v61
	v_cndmask_b32_e64 v56, 0, 1, s10
	v_cmp_ne_u32_e64 s10, v83, v47
	v_lshrrev_b32_e32 v47, v74, v98
	v_cndmask_b32_e64 v61, 0, 1, s11
	v_cmp_ne_u32_e64 s11, 0, v28
	v_add_nc_u32_e32 v71, 0xfffffc10, v71
	v_lshlrev_b32_e32 v70, v70, v79
	v_lshl_or_b32 v45, v69, 12, v28
	v_lshrrev_b32_e32 v83, v76, v100
	v_lshlrev_b32_e32 v74, v74, v47
	v_cndmask_b32_e64 v28, 0, 1, s11
	v_cmp_ne_u32_e64 s11, 0, v30
	v_cmp_ne_u32_e64 s9, v70, v78
	v_lshl_or_b32 v70, v71, 12, v30
	v_lshlrev_b32_e32 v76, v76, v83
	v_add_nc_u32_e32 v73, 0xfffffc10, v85
	v_cndmask_b32_e64 v30, 0, 1, s11
	v_cmp_ne_u32_e64 s11, v74, v98
	v_cndmask_b32_e64 v98, 0, 1, vcc_lo
	v_cmp_ne_u32_e32 vcc_lo, v76, v100
	v_add_nc_u32_e32 v85, 0xfffffc10, v87
	v_add_nc_u32_e32 v87, 0xfffffc10, v89
	v_cndmask_b32_e64 v74, 0, 1, s11
	v_or_b32_e32 v90, v90, v98
	v_cndmask_b32_e64 v100, 0, 1, vcc_lo
	v_cmp_gt_i32_e32 vcc_lo, 1, v55
	v_cndmask_b32_e64 v98, 0, 1, s1
	v_or_b32_e32 v47, v47, v74
	v_cndmask_b32_e64 v74, 0, 1, s0
	v_or_b32_e32 v83, v83, v100
	v_add_nc_u32_e32 v89, 0xfffffc10, v91
	v_or_b32_e32 v94, v94, v98
	v_cndmask_b32_e32 v47, v92, v47, vcc_lo
	v_cmp_gt_i32_e32 vcc_lo, 1, v58
	v_or_b32_e32 v68, v68, v74
	v_cndmask_b32_e64 v74, 0, 1, s3
	v_cndmask_b32_e64 v98, 0, 1, s4
	v_add_nc_u32_e32 v91, 0xfffffc10, v93
	v_cndmask_b32_e32 v75, v75, v90, vcc_lo
	v_cmp_gt_i32_e32 vcc_lo, 1, v64
	v_or_b32_e32 v74, v82, v74
	v_cndmask_b32_e64 v82, 0, 1, s5
	v_or_b32_e32 v84, v84, v98
	v_lshl_or_b32 v98, v85, 12, v36
	v_cndmask_b32_e32 v57, v57, v83, vcc_lo
	v_cmp_gt_i32_e32 vcc_lo, 1, v67
	v_add_nc_u32_e32 v93, 0xfffffc10, v95
	v_or_b32_e32 v82, v86, v82
	v_lshl_or_b32 v86, v89, 12, v40
	v_cndmask_b32_e64 v90, 0, 1, s7
	v_cndmask_b32_e32 v68, v99, v68, vcc_lo
	v_cmp_ne_u32_e32 vcc_lo, 0, v36
	v_lshl_or_b32 v76, v72, 12, v32
	v_cndmask_b32_e64 v100, 0, 1, s2
	v_or_b32_e32 v80, v80, v90
	v_lshl_or_b32 v90, v93, 12, v44
	v_cndmask_b32_e64 v36, 0, 1, vcc_lo
	v_cmp_ne_u32_e32 vcc_lo, 0, v40
	v_or_b32_e32 v96, v96, v100
	v_lshl_or_b32 v100, v73, 12, v34
	v_cndmask_b32_e64 v92, 0, 1, s6
	v_bfe_u32 v97, v23, 20, 11
	v_cndmask_b32_e64 v40, 0, 1, vcc_lo
	v_cmp_ne_u32_e32 vcc_lo, 0, v44
	v_cndmask_b32_e64 v83, 0, 1, s8
	v_or_b32_e32 v88, v88, v92
	v_lshl_or_b32 v92, v87, 12, v38
	v_sub_nc_u32_e32 v95, 0x3f1, v97
	v_cndmask_b32_e64 v44, 0, 1, vcc_lo
	v_cmp_ne_u32_e32 vcc_lo, 0, v32
	v_or_b32_e32 v81, v81, v83
	v_lshl_or_b32 v83, v91, 12, v42
	v_med3_i32 v78, v95, 0, 13
	v_lshl_or_b32 v95, v22, 12, v66
	v_cndmask_b32_e64 v32, 0, 1, vcc_lo
	v_cmp_ne_u32_e32 vcc_lo, 0, v34
	v_lshl_or_b32 v46, v46, 9, 0x7c00
	v_lshl_or_b32 v56, v56, 9, 0x7c00
	;; [unrolled: 1-line block ×4, first 2 shown]
	v_cndmask_b32_e64 v34, 0, 1, vcc_lo
	v_cmp_gt_i32_e32 vcc_lo, 1, v69
	v_lshl_or_b32 v28, v28, 9, 0x7c00
	v_lshl_or_b32 v30, v30, 9, 0x7c00
	v_lshl_or_b32 v32, v32, 9, 0x7c00
	v_lshl_or_b32 v34, v34, 9, 0x7c00
	v_cndmask_b32_e32 v45, v45, v94, vcc_lo
	v_cmp_ne_u32_e32 vcc_lo, 0, v38
	v_cndmask_b32_e64 v94, 0, 1, s9
	v_lshl_or_b32 v36, v36, 9, 0x7c00
	v_lshrrev_b32_e32 v33, 16, v33
	v_or_b32_e32 v99, 0x1000, v26
	v_cndmask_b32_e64 v38, 0, 1, vcc_lo
	v_cmp_ne_u32_e32 vcc_lo, 0, v42
	v_or_b32_e32 v79, v79, v94
	v_lshl_or_b32 v40, v40, 9, 0x7c00
	v_lshrrev_b32_e32 v35, 16, v35
	v_lshl_or_b32 v38, v38, 9, 0x7c00
	v_cndmask_b32_e64 v42, 0, 1, vcc_lo
	v_cmp_gt_i32_e32 vcc_lo, 1, v71
	v_lshrrev_b32_e32 v37, 16, v37
	v_lshrrev_b32_e32 v60, 16, v60
	;; [unrolled: 1-line block ×4, first 2 shown]
	v_cndmask_b32_e32 v70, v70, v96, vcc_lo
	v_cmp_gt_i32_e32 vcc_lo, 1, v22
	v_cndmask_b32_e64 v96, 0, 1, s10
	v_lshl_or_b32 v42, v42, 9, 0x7c00
	v_lshrrev_b32_e32 v62, 16, v62
	v_lshrrev_b32_e32 v65, 16, v65
	v_cndmask_b32_e32 v74, v95, v74, vcc_lo
	v_cmp_gt_i32_e32 vcc_lo, 1, v72
	v_or_b32_e32 v77, v77, v96
	v_and_b32_e32 v95, 7, v70
	v_lshrrev_b32_e32 v70, 2, v70
	v_and_b32_e32 v96, 7, v74
	v_cndmask_b32_e32 v76, v76, v84, vcc_lo
	v_cmp_gt_i32_e32 vcc_lo, 1, v73
	v_cmp_lt_i32_e64 s9, 5, v95
	v_cmp_eq_u32_e64 s10, 3, v95
	v_cmp_lt_i32_e64 s11, 5, v96
	v_cmp_eq_u32_e64 s12, 3, v96
	v_cndmask_b32_e32 v82, v100, v82, vcc_lo
	v_cmp_gt_i32_e32 vcc_lo, 1, v85
	v_lshrrev_b32_e32 v74, 2, v74
	v_lshrrev_b32_e32 v31, 16, v31
	;; [unrolled: 1-line block ×3, first 2 shown]
	v_lshl_or_b32 v44, v44, 9, 0x7c00
	v_cndmask_b32_e32 v84, v98, v88, vcc_lo
	v_cmp_gt_i32_e32 vcc_lo, 1, v87
	v_and_b32_e32 v88, 7, v57
	v_lshrrev_b32_e32 v57, 2, v57
	v_lshlrev_b32_e32 v78, v78, v94
	v_lshrrev_b32_e32 v27, 16, v27
	v_cndmask_b32_e32 v80, v92, v80, vcc_lo
	v_cmp_gt_i32_e32 vcc_lo, 1, v89
	v_cmp_lt_i32_e64 s3, 5, v88
	v_cmp_eq_u32_e64 s4, 3, v88
	v_and_b32_e32 v92, 7, v45
	v_lshrrev_b32_e32 v45, 2, v45
	v_cndmask_b32_e32 v81, v86, v81, vcc_lo
	v_cmp_gt_i32_e32 vcc_lo, 1, v91
	v_and_b32_e32 v86, 7, v47
	v_lshrrev_b32_e32 v47, 2, v47
	v_cmp_lt_i32_e64 s7, 5, v92
	v_cmp_eq_u32_e64 s8, 3, v92
	v_cndmask_b32_e32 v79, v83, v79, vcc_lo
	v_cmp_gt_i32_e32 vcc_lo, 1, v93
	v_and_b32_e32 v83, 7, v75
	v_cmp_eq_u32_e64 s0, 3, v86
	v_lshrrev_b32_e32 v75, 2, v75
	v_and_b32_e32 v88, 7, v84
	v_cndmask_b32_e32 v77, v90, v77, vcc_lo
	v_cmp_lt_i32_e32 vcc_lo, 5, v86
	v_cmp_lt_i32_e64 s1, 5, v83
	v_cmp_eq_u32_e64 s2, 3, v83
	v_and_b32_e32 v90, 7, v68
	v_lshrrev_b32_e32 v68, 2, v68
	s_or_b32 vcc_lo, s0, vcc_lo
	v_cmp_lt_i32_e64 s17, 5, v88
	v_add_co_ci_u32_e32 v47, vcc_lo, 0, v47, vcc_lo
	s_or_b32 vcc_lo, s2, s1
	v_cmp_lt_i32_e64 s5, 5, v90
	v_cmp_eq_u32_e64 s6, 3, v90
	v_add_co_ci_u32_e32 v75, vcc_lo, 0, v75, vcc_lo
	s_or_b32 vcc_lo, s4, s3
	v_cmp_eq_u32_e64 s18, 3, v88
	v_add_co_ci_u32_e32 v57, vcc_lo, 0, v57, vcc_lo
	s_or_b32 vcc_lo, s6, s5
	v_and_b32_e32 v83, 7, v76
	v_add_co_ci_u32_e32 v68, vcc_lo, 0, v68, vcc_lo
	s_or_b32 vcc_lo, s8, s7
	v_lshrrev_b32_e32 v84, 2, v84
	v_add_co_ci_u32_e32 v45, vcc_lo, 0, v45, vcc_lo
	s_or_b32 vcc_lo, s10, s9
	v_cmp_lt_i32_e64 s13, 5, v83
	v_add_co_ci_u32_e32 v70, vcc_lo, 0, v70, vcc_lo
	s_or_b32 vcc_lo, s12, s11
	v_cmp_eq_u32_e64 s14, 3, v83
	v_add_co_ci_u32_e32 v74, vcc_lo, 0, v74, vcc_lo
	v_cmp_gt_i32_e32 vcc_lo, 31, v55
	v_and_b32_e32 v92, 7, v81
	v_lshrrev_b32_e32 v81, 2, v81
	v_and_b32_e32 v96, 7, v77
	v_and_b32_e32 v86, 7, v82
	v_cndmask_b32_e32 v47, 0x7c00, v47, vcc_lo
	v_cmp_gt_i32_e32 vcc_lo, 31, v58
	v_cmp_lt_i32_e64 s21, 5, v92
	v_cmp_eq_u32_e64 s22, 3, v92
	v_cmp_lt_i32_e64 s25, 5, v96
	v_cmp_eq_u32_e64 s26, 3, v96
	v_cndmask_b32_e32 v75, 0x7c00, v75, vcc_lo
	s_or_b32 vcc_lo, s18, s17
	v_lshrrev_b32_e32 v77, 2, v77
	v_add_co_ci_u32_e32 v83, vcc_lo, 0, v84, vcc_lo
	v_cmp_gt_i32_e32 vcc_lo, 31, v64
	v_and_b32_e32 v90, 7, v80
	v_lshrrev_b32_e32 v76, 2, v76
	v_cmp_lt_i32_e64 s15, 5, v86
	v_cmp_eq_u32_e64 s16, 3, v86
	v_cndmask_b32_e32 v57, 0x7c00, v57, vcc_lo
	v_cmp_gt_i32_e32 vcc_lo, 31, v67
	v_and_b32_e32 v95, 7, v79
	v_lshrrev_b32_e32 v82, 2, v82
	v_cmp_lt_i32_e64 s19, 5, v90
	v_cmp_eq_u32_e64 s20, 3, v90
	v_cndmask_b32_e32 v68, 0x7c00, v68, vcc_lo
	s_or_b32 vcc_lo, s22, s21
	v_lshrrev_b32_e32 v80, 2, v80
	v_add_co_ci_u32_e32 v81, vcc_lo, 0, v81, vcc_lo
	v_cmp_gt_i32_e32 vcc_lo, 31, v69
	v_cmp_lt_i32_e64 s23, 5, v95
	v_cmp_eq_u32_e64 s24, 3, v95
	v_lshrrev_b32_e32 v79, 2, v79
	v_fmac_f16_e32 v12, v54, v0
	v_cndmask_b32_e32 v45, 0x7c00, v45, vcc_lo
	v_cmp_gt_i32_e32 vcc_lo, 31, v71
	v_lshrrev_b32_e32 v43, 16, v43
	v_mul_f16_sdwa v0, v54, v0 dst_sel:DWORD dst_unused:UNUSED_PAD src0_sel:WORD_1 src1_sel:DWORD
	v_lshrrev_b32_e32 v41, 16, v41
	v_add_nc_u32_e32 v11, s29, v11
	v_cndmask_b32_e32 v70, 0x7c00, v70, vcc_lo
	s_or_b32 vcc_lo, s26, s25
	v_fma_f16 v0, v54, v7, -v0
	v_add_co_ci_u32_e32 v77, vcc_lo, 0, v77, vcc_lo
	s_or_b32 vcc_lo, s14, s13
	v_add_co_ci_u32_e32 v76, vcc_lo, 0, v76, vcc_lo
	s_or_b32 vcc_lo, s16, s15
	v_cvt_f32_f16_e32 v0, v0
	v_add_co_ci_u32_e32 v82, vcc_lo, 0, v82, vcc_lo
	s_or_b32 vcc_lo, s20, s19
	v_add_co_ci_u32_e32 v80, vcc_lo, 0, v80, vcc_lo
	s_or_b32 vcc_lo, s24, s23
	v_add_co_ci_u32_e32 v79, vcc_lo, 0, v79, vcc_lo
	v_cmp_eq_u32_e32 vcc_lo, 0x40f, v55
	v_cndmask_b32_e32 v46, v47, v46, vcc_lo
	v_cmp_eq_u32_e32 vcc_lo, 0x40f, v58
	v_cndmask_b32_e32 v47, v75, v56, vcc_lo
	v_cmp_gt_i32_e32 vcc_lo, 31, v85
	v_cndmask_b32_e32 v55, 0x7c00, v83, vcc_lo
	v_cmp_eq_u32_e32 vcc_lo, 0x40f, v64
	v_cndmask_b32_e32 v56, v57, v59, vcc_lo
	v_cmp_eq_u32_e32 vcc_lo, 0x40f, v67
	v_cndmask_b32_e32 v57, v68, v61, vcc_lo
	v_cmp_gt_i32_e32 vcc_lo, 31, v89
	v_and_or_b32 v27, 0x8000, v27, v57
	v_cndmask_b32_e32 v58, 0x7c00, v81, vcc_lo
	v_cmp_eq_u32_e32 vcc_lo, 0x40f, v69
	v_cndmask_b32_e32 v28, v45, v28, vcc_lo
	v_cmp_eq_u32_e32 vcc_lo, 0x40f, v71
	v_and_or_b32 v28, 0x8000, v29, v28
	v_cndmask_b32_e32 v30, v70, v30, vcc_lo
	v_cmp_gt_i32_e32 vcc_lo, 31, v72
	v_and_or_b32 v30, 0x8000, v31, v30
	v_cndmask_b32_e32 v45, 0x7c00, v76, vcc_lo
	v_cmp_gt_i32_e32 vcc_lo, 31, v93
	v_cndmask_b32_e32 v59, 0x7c00, v77, vcc_lo
	v_cmp_gt_i32_e32 vcc_lo, 31, v73
	;; [unrolled: 2-line block ×4, first 2 shown]
	v_cndmask_b32_e32 v67, 0x7c00, v79, vcc_lo
	v_cmp_eq_u32_e32 vcc_lo, 0x40f, v72
	v_cndmask_b32_e32 v32, v45, v32, vcc_lo
	v_cmp_eq_u32_e32 vcc_lo, 0x40f, v73
	v_and_or_b32 v45, 0x8000, v60, v46
	v_and_or_b32 v46, 0x8000, v62, v47
	;; [unrolled: 1-line block ×4, first 2 shown]
	v_cndmask_b32_e32 v34, v61, v34, vcc_lo
	v_cmp_eq_u32_e32 vcc_lo, 0x40f, v85
	v_and_b32_e32 v32, 0xffff, v32
	v_and_or_b32 v33, 0x8000, v35, v34
	v_cndmask_b32_e32 v36, v55, v36, vcc_lo
	v_cmp_eq_u32_e32 vcc_lo, 0x40f, v87
	v_lshl_or_b32 v32, v45, 16, v32
	v_and_b32_e32 v33, 0xffff, v33
	v_and_or_b32 v34, 0x8000, v37, v36
	v_cndmask_b32_e32 v38, v64, v38, vcc_lo
	v_cmp_eq_u32_e32 vcc_lo, 0x40f, v89
	v_lshl_or_b32 v33, v46, 16, v33
	;; [unrolled: 5-line block ×3, first 2 shown]
	v_and_b32_e32 v35, 0xffff, v35
	global_store_dword v[8:9], v32, off
	global_store_dword v[14:15], v33, off
	;; [unrolled: 1-line block ×3, first 2 shown]
	v_cndmask_b32_e32 v29, v67, v42, vcc_lo
	v_cmp_eq_u32_e32 vcc_lo, 0x40f, v93
	v_cvt_f32_f16_e32 v9, v12
	v_lshl_or_b32 v27, v27, 16, v35
	v_add_nc_u32_e32 v16, 0xfffffc10, v97
	v_lshrrev_b32_e32 v14, 8, v4
	v_cndmask_b32_e32 v31, v59, v44, vcc_lo
	v_cmp_ne_u32_e32 vcc_lo, v78, v99
	v_bfe_u32 v17, v4, 20, 11
	v_and_or_b32 v29, 0x8000, v43, v29
	global_store_dword v[20:21], v27, off
	v_lshl_or_b32 v20, v16, 12, v26
	v_cndmask_b32_e64 v8, 0, 1, vcc_lo
	v_cmp_ne_u32_e32 vcc_lo, 0, v24
	v_and_b32_e32 v29, 0xffff, v29
	v_and_or_b32 v36, 0x8000, v41, v40
	v_and_or_b32 v3, 0x8000, v3, v31
	v_or_b32_e32 v15, v94, v8
	v_cndmask_b32_e64 v12, 0, 1, vcc_lo
	v_cvt_f64_f32_e32 v[8:9], v9
	v_cmp_ne_u32_e32 vcc_lo, 0, v66
	v_lshl_or_b32 v29, v30, 16, v29
	v_and_b32_e32 v36, 0xffff, v36
	v_and_or_b32 v12, 0xffe, v14, v12
	v_sub_nc_u32_e32 v14, 0x3f1, v17
	v_cndmask_b32_e64 v21, 0, 1, vcc_lo
	v_cmp_gt_i32_e32 vcc_lo, 1, v16
	v_lshl_or_b32 v28, v28, 16, v36
	v_or_b32_e32 v24, 0x1000, v12
	v_med3_i32 v14, v14, 0, 13
	v_lshl_or_b32 v21, v21, 9, 0x7c00
	v_cndmask_b32_e32 v20, v20, v15, vcc_lo
	v_cmp_gt_i32_e32 vcc_lo, 31, v22
	global_store_dword v[18:19], v28, off
	global_store_dword v[10:11], v29, off
	v_lshrrev_b32_e32 v27, v14, v24
	v_lshrrev_b32_e32 v4, 16, v4
	v_and_b32_e32 v30, 7, v20
	v_cndmask_b32_e32 v15, 0x7c00, v74, vcc_lo
	v_cmp_eq_u32_e32 vcc_lo, 0x40f, v22
	v_lshlrev_b32_e32 v22, v14, v27
	v_and_b32_e32 v3, 0xffff, v3
	v_cmp_eq_u32_e64 s0, 3, v30
	v_mul_f64 v[7:8], v[8:9], s[30:31]
	v_cndmask_b32_e32 v21, v15, v21, vcc_lo
	v_cmp_lt_i32_e32 vcc_lo, 5, v30
	v_cvt_f64_f32_e32 v[14:15], v0
	v_lshrrev_b32_e32 v9, 2, v20
	v_cmp_ne_u32_e64 s1, v22, v24
	v_add_nc_u32_e32 v22, 0xfffffc10, v17
	s_or_b32 vcc_lo, s0, vcc_lo
	v_lshrrev_b32_e32 v0, 16, v25
	v_add_co_ci_u32_e32 v9, vcc_lo, 0, v9, vcc_lo
	v_cmp_ne_u32_e32 vcc_lo, 0, v26
	v_cndmask_b32_e64 v20, 0, 1, s1
	v_and_or_b32 v0, 0x8000, v0, v21
	v_cndmask_b32_e64 v24, 0, 1, vcc_lo
	v_cmp_gt_i32_e32 vcc_lo, 31, v16
	v_or_b32_e32 v17, v27, v20
	v_lshl_or_b32 v20, v22, 12, v12
	v_lshl_or_b32 v0, v0, 16, v3
	v_cndmask_b32_e32 v9, 0x7c00, v9, vcc_lo
	v_cmp_gt_i32_e32 vcc_lo, 1, v22
	v_and_or_b32 v7, 0x1ff, v8, v7
	v_mul_f64 v[14:15], v[14:15], s[30:31]
	v_lshrrev_b32_e32 v18, 8, v8
	v_bfe_u32 v19, v8, 20, 11
	v_cndmask_b32_e32 v17, v20, v17, vcc_lo
	v_lshl_or_b32 v20, v24, 9, 0x7c00
	v_cmp_eq_u32_e32 vcc_lo, 0x40f, v16
	v_lshrrev_b32_e32 v16, 16, v23
	v_cmp_ne_u32_e64 s1, 0, v7
	v_and_b32_e32 v21, 7, v17
	v_cndmask_b32_e32 v9, v9, v20, vcc_lo
	v_lshrrev_b32_e32 v20, 16, v13
	v_cndmask_b32_e64 v7, 0, 1, s1
	v_cmp_lt_i32_e32 vcc_lo, 5, v21
	v_cmp_eq_u32_e64 s0, 3, v21
	v_and_or_b32 v9, 0x8000, v16, v9
	v_lshrrev_b32_e32 v16, 2, v17
	v_and_or_b32 v7, 0xffe, v18, v7
	v_sub_nc_u32_e32 v17, 0x3f1, v19
	s_or_b32 vcc_lo, s0, vcc_lo
	v_mul_f16_sdwa v18, v53, v20 dst_sel:DWORD dst_unused:UNUSED_PAD src0_sel:WORD_1 src1_sel:DWORD
	v_add_co_ci_u32_e32 v16, vcc_lo, 0, v16, vcc_lo
	v_cmp_ne_u32_e32 vcc_lo, 0, v12
	v_or_b32_e32 v21, 0x1000, v7
	v_med3_i32 v23, v17, 0, 13
	v_and_or_b32 v14, 0x1ff, v15, v14
	v_fmac_f16_e32 v18, v53, v13
	v_cndmask_b32_e64 v12, 0, 1, vcc_lo
	v_cmp_gt_i32_e32 vcc_lo, 31, v22
	v_lshrrev_b32_e32 v24, v23, v21
	v_bfe_u32 v26, v15, 20, 11
	v_add_nc_u32_e32 v19, 0xfffffc10, v19
	v_lshl_or_b32 v12, v12, 9, 0x7c00
	v_cndmask_b32_e32 v25, 0x7c00, v16, vcc_lo
	v_cmp_ne_u32_e32 vcc_lo, 0, v14
	v_cvt_f32_f16_e32 v16, v18
	v_lshrrev_b32_e32 v18, 8, v15
	v_lshlrev_b32_e32 v23, v23, v24
	v_lshrrev_b32_e32 v15, 16, v15
	v_cndmask_b32_e64 v14, 0, 1, vcc_lo
	v_cmp_eq_u32_e32 vcc_lo, 0x40f, v22
	v_cvt_f64_f32_e32 v[16:17], v16
	v_and_or_b32 v18, 0xffe, v18, v14
	v_cndmask_b32_e32 v12, v25, v12, vcc_lo
	v_sub_nc_u32_e32 v14, 0x3f1, v26
	v_cmp_ne_u32_e32 vcc_lo, v23, v21
	v_lshl_or_b32 v23, v19, 12, v7
	v_or_b32_e32 v22, 0x1000, v18
	v_med3_i32 v14, v14, 0, 13
	v_cndmask_b32_e64 v21, 0, 1, vcc_lo
	v_cmp_gt_i32_e32 vcc_lo, 1, v19
	v_lshrrev_b32_e32 v25, v14, v22
	v_or_b32_e32 v21, v24, v21
	v_and_or_b32 v24, 0x8000, v4, v12
	v_mul_f16_sdwa v12, v53, v13 dst_sel:DWORD dst_unused:UNUSED_PAD src0_sel:WORD_1 src1_sel:DWORD
	v_lshlrev_b32_e32 v14, v14, v25
	v_cndmask_b32_e32 v13, v23, v21, vcc_lo
	v_mul_f64 v[3:4], v[16:17], s[30:31]
	v_fma_f16 v12, v53, v20, -v12
	v_and_b32_e32 v21, 0xffff, v9
	v_cmp_ne_u32_e64 s0, v14, v22
	v_and_b32_e32 v16, 7, v13
	v_add_co_u32 v9, vcc_lo, v10, s27
	v_add_co_ci_u32_e32 v10, vcc_lo, s33, v11, vcc_lo
	v_cvt_f32_f16_e32 v11, v12
	v_cmp_lt_i32_e32 vcc_lo, 5, v16
	v_cndmask_b32_e64 v14, 0, 1, s0
	v_cmp_eq_u32_e64 s0, 3, v16
	v_lshrrev_b32_e32 v13, 2, v13
	v_cvt_f64_f32_e32 v[11:12], v11
	v_lshl_or_b32 v20, v24, 16, v21
	v_add_nc_u32_e32 v17, 0xfffffc10, v26
	s_or_b32 vcc_lo, s0, vcc_lo
	v_or_b32_e32 v14, v25, v14
	v_add_co_ci_u32_e32 v21, vcc_lo, 0, v13, vcc_lo
	v_cmp_ne_u32_e32 vcc_lo, 0, v7
	v_lshl_or_b32 v16, v17, 12, v18
	v_and_or_b32 v3, 0x1ff, v4, v3
	v_lshrrev_b32_e32 v25, 16, v6
	v_lshrrev_b32_e32 v23, 8, v4
	v_cndmask_b32_e64 v7, 0, 1, vcc_lo
	v_cmp_gt_i32_e32 vcc_lo, 1, v17
	v_bfe_u32 v24, v4, 20, 11
	global_store_dword v[9:10], v0, off
	v_lshrrev_b32_e32 v4, 16, v4
	v_lshl_or_b32 v7, v7, 9, 0x7c00
	v_cndmask_b32_e32 v16, v16, v14, vcc_lo
	v_add_co_u32 v13, vcc_lo, v9, s27
	v_add_co_ci_u32_e32 v14, vcc_lo, s33, v10, vcc_lo
	v_cmp_gt_i32_e32 vcc_lo, 31, v19
	v_mul_f64 v[11:12], v[11:12], s[30:31]
	v_and_b32_e32 v22, 7, v16
	v_lshrrev_b32_e32 v16, 2, v16
	global_store_dword v[13:14], v20, off
	v_cndmask_b32_e32 v21, 0x7c00, v21, vcc_lo
	v_cmp_ne_u32_e32 vcc_lo, 0, v3
	v_cmp_eq_u32_e64 s0, 3, v22
	v_lshrrev_b32_e32 v20, 16, v2
	v_cndmask_b32_e64 v3, 0, 1, vcc_lo
	v_cmp_eq_u32_e32 vcc_lo, 0x40f, v19
	v_and_or_b32 v3, 0xffe, v23, v3
	v_cndmask_b32_e32 v19, v21, v7, vcc_lo
	v_cmp_lt_i32_e32 vcc_lo, 5, v22
	v_mul_f16_sdwa v7, v52, v25 dst_sel:DWORD dst_unused:UNUSED_PAD src0_sel:WORD_1 src1_sel:DWORD
	v_lshrrev_b32_e32 v21, 16, v8
	v_sub_nc_u32_e32 v8, 0x3f1, v24
	v_or_b32_e32 v22, 0x1000, v3
	s_or_b32 vcc_lo, s0, vcc_lo
	v_fmac_f16_e32 v7, v52, v6
	v_add_co_ci_u32_e32 v16, vcc_lo, 0, v16, vcc_lo
	v_cmp_ne_u32_e32 vcc_lo, 0, v18
	v_med3_i32 v23, v8, 0, 13
	v_cvt_f32_f16_e32 v7, v7
	v_and_or_b32 v11, 0x1ff, v12, v11
	v_and_or_b32 v19, 0x8000, v21, v19
	v_cndmask_b32_e64 v18, 0, 1, vcc_lo
	v_cmp_gt_i32_e32 vcc_lo, 31, v17
	v_cvt_f64_f32_e32 v[7:8], v7
	v_lshrrev_b32_e32 v26, v23, v22
	v_lshrrev_b32_e32 v21, 8, v12
	v_lshl_or_b32 v18, v18, 9, 0x7c00
	v_cndmask_b32_e32 v16, 0x7c00, v16, vcc_lo
	v_cmp_ne_u32_e32 vcc_lo, 0, v11
	v_lshlrev_b32_e32 v23, v23, v26
	v_bfe_u32 v27, v12, 20, 11
	v_mul_f16_sdwa v6, v52, v6 dst_sel:DWORD dst_unused:UNUSED_PAD src0_sel:WORD_1 src1_sel:DWORD
	v_lshrrev_b32_e32 v12, 16, v12
	v_cndmask_b32_e64 v11, 0, 1, vcc_lo
	v_cmp_eq_u32_e32 vcc_lo, 0x40f, v17
	v_fma_f16 v6, v52, v25, -v6
	v_and_or_b32 v11, 0xffe, v21, v11
	v_cndmask_b32_e32 v16, v16, v18, vcc_lo
	v_cmp_ne_u32_e32 vcc_lo, v23, v22
	v_sub_nc_u32_e32 v21, 0x3f1, v27
	v_add_nc_u32_e32 v18, 0xfffffc10, v24
	v_or_b32_e32 v23, 0x1000, v11
	v_and_or_b32 v15, 0x8000, v15, v16
	v_cndmask_b32_e64 v17, 0, 1, vcc_lo
	v_med3_i32 v21, v21, 0, 13
	v_lshl_or_b32 v22, v18, 12, v3
	v_and_b32_e32 v16, 0xffff, v19
	v_cmp_gt_i32_e32 vcc_lo, 1, v18
	v_or_b32_e32 v17, v26, v17
	v_lshrrev_b32_e32 v19, v21, v23
	v_mul_f64 v[7:8], v[7:8], s[30:31]
	v_lshl_or_b32 v0, v15, 16, v16
	v_cvt_f32_f16_e32 v6, v6
	v_cndmask_b32_e32 v17, v22, v17, vcc_lo
	v_lshlrev_b32_e32 v15, v21, v19
	v_add_co_u32 v9, vcc_lo, v13, s27
	v_add_co_ci_u32_e32 v10, vcc_lo, s33, v14, vcc_lo
	v_and_b32_e32 v21, 7, v17
	v_cmp_ne_u32_e64 s0, v15, v23
	v_cvt_f64_f32_e32 v[15:16], v6
	v_lshrrev_b32_e32 v6, 2, v17
	v_add_nc_u32_e32 v23, 0xfffffc10, v27
	v_cmp_lt_i32_e32 vcc_lo, 5, v21
	v_cndmask_b32_e64 v22, 0, 1, s0
	v_cmp_eq_u32_e64 s0, 3, v21
	global_store_dword v[9:10], v0, off
	v_or_b32_e32 v17, v19, v22
	s_or_b32 vcc_lo, s0, vcc_lo
	v_and_or_b32 v7, 0x1ff, v8, v7
	v_add_co_ci_u32_e32 v21, vcc_lo, 0, v6, vcc_lo
	v_lshl_or_b32 v19, v23, 12, v11
	v_cmp_gt_i32_e32 vcc_lo, 1, v23
	v_lshrrev_b32_e32 v22, 16, v5
	v_cndmask_b32_e32 v17, v19, v17, vcc_lo
	v_cmp_ne_u32_e32 vcc_lo, 0, v7
	v_lshrrev_b32_e32 v7, 8, v8
	v_bfe_u32 v19, v8, 20, 11
	v_and_b32_e32 v24, 7, v17
	v_cndmask_b32_e64 v6, 0, 1, vcc_lo
	v_cmp_ne_u32_e32 vcc_lo, 0, v3
	v_lshrrev_b32_e32 v17, 2, v17
	v_sub_nc_u32_e32 v26, 0x3f1, v19
	v_cmp_eq_u32_e64 s0, 3, v24
	v_and_or_b32 v25, 0xffe, v7, v6
	v_cndmask_b32_e64 v3, 0, 1, vcc_lo
	v_cmp_gt_i32_e32 vcc_lo, 31, v18
	v_mul_f64 v[6:7], v[15:16], s[30:31]
	v_mul_f16_sdwa v15, v51, v22 dst_sel:DWORD dst_unused:UNUSED_PAD src0_sel:WORD_1 src1_sel:DWORD
	v_or_b32_e32 v27, 0x1000, v25
	v_med3_i32 v16, v26, 0, 13
	v_cndmask_b32_e32 v21, 0x7c00, v21, vcc_lo
	v_cmp_lt_i32_e32 vcc_lo, 5, v24
	v_fmac_f16_e32 v15, v51, v5
	v_lshl_or_b32 v3, v3, 9, 0x7c00
	v_lshrrev_b32_e32 v24, v16, v27
	v_mul_f16_sdwa v5, v51, v5 dst_sel:DWORD dst_unused:UNUSED_PAD src0_sel:WORD_1 src1_sel:DWORD
	s_or_b32 vcc_lo, s0, vcc_lo
	v_cvt_f32_f16_e32 v15, v15
	v_add_co_ci_u32_e32 v17, vcc_lo, 0, v17, vcc_lo
	v_cmp_ne_u32_e32 vcc_lo, 0, v11
	v_lshlrev_b32_e32 v26, v16, v24
	v_cvt_f64_f32_e32 v[15:16], v15
	v_fma_f16 v14, v51, v22, -v5
	v_add_co_u32 v5, s1, v9, s27
	v_cndmask_b32_e64 v11, 0, 1, vcc_lo
	v_cmp_gt_i32_e32 vcc_lo, 31, v23
	v_and_or_b32 v6, 0x1ff, v7, v6
	v_cvt_f32_f16_e32 v9, v14
	v_lshl_or_b32 v11, v11, 9, 0x7c00
	v_cndmask_b32_e32 v17, 0x7c00, v17, vcc_lo
	v_cmp_eq_u32_e32 vcc_lo, 0x40f, v18
	v_cndmask_b32_e32 v3, v21, v3, vcc_lo
	v_cmp_ne_u32_e32 vcc_lo, v26, v27
	v_bfe_u32 v21, v7, 20, 11
	v_cndmask_b32_e64 v18, 0, 1, vcc_lo
	v_cmp_eq_u32_e32 vcc_lo, 0x40f, v23
	v_add_nc_u32_e32 v14, 0xfffffc10, v21
	v_or_b32_e32 v18, v24, v18
	v_cndmask_b32_e32 v11, v17, v11, vcc_lo
	v_cmp_ne_u32_e32 vcc_lo, 0, v6
	v_add_nc_u32_e32 v17, 0xfffffc10, v19
	v_lshrrev_b32_e32 v19, 8, v7
	v_and_or_b32 v24, 0x8000, v4, v3
	v_mul_f64 v[3:4], v[15:16], s[30:31]
	v_cndmask_b32_e64 v6, 0, 1, vcc_lo
	v_lshl_or_b32 v23, v17, 12, v25
	v_cmp_gt_i32_e32 vcc_lo, 1, v17
	v_and_or_b32 v11, 0x8000, v12, v11
	v_and_b32_e32 v12, 0xffff, v24
	v_and_or_b32 v19, 0xffe, v19, v6
	v_sub_nc_u32_e32 v6, 0x3f1, v21
	v_cndmask_b32_e32 v15, v23, v18, vcc_lo
	v_mul_f16_sdwa v21, v50, v20 dst_sel:DWORD dst_unused:UNUSED_PAD src0_sel:WORD_1 src1_sel:DWORD
	v_lshl_or_b32 v0, v11, 16, v12
	v_or_b32_e32 v16, 0x1000, v19
	v_med3_i32 v6, v6, 0, 13
	v_and_b32_e32 v18, 7, v15
	v_lshrrev_b32_e32 v12, 2, v15
	v_fmac_f16_e32 v21, v50, v2
	v_mul_f16_sdwa v2, v50, v2 dst_sel:DWORD dst_unused:UNUSED_PAD src0_sel:WORD_1 src1_sel:DWORD
	v_lshrrev_b32_e32 v13, v6, v16
	v_cmp_lt_i32_e32 vcc_lo, 5, v18
	v_cmp_eq_u32_e64 s0, 3, v18
	v_lshrrev_b32_e32 v7, 16, v7
	v_fma_f16 v2, v50, v20, -v2
	v_lshlrev_b32_e32 v11, v6, v13
	v_add_co_ci_u32_e64 v6, s1, s33, v10, s1
	s_or_b32 vcc_lo, s0, vcc_lo
	v_and_or_b32 v3, 0x1ff, v4, v3
	v_add_co_ci_u32_e32 v12, vcc_lo, 0, v12, vcc_lo
	v_cmp_ne_u32_e64 s1, v11, v16
	v_cmp_ne_u32_e32 vcc_lo, 0, v25
	v_cvt_f64_f32_e32 v[9:10], v9
	v_lshrrev_b32_e32 v16, 8, v4
	v_bfe_u32 v18, v4, 20, 11
	v_cndmask_b32_e64 v11, 0, 1, s1
	v_cndmask_b32_e64 v15, 0, 1, vcc_lo
	v_cmp_ne_u32_e32 vcc_lo, 0, v3
	v_cmp_eq_u32_e64 s1, 0x40f, v17
	v_cvt_f32_f16_e32 v2, v2
	v_or_b32_e32 v11, v13, v11
	v_lshl_or_b32 v13, v14, 12, v19
	v_cndmask_b32_e64 v3, 0, 1, vcc_lo
	v_cmp_gt_i32_e32 vcc_lo, 1, v14
	v_lshl_or_b32 v15, v15, 9, 0x7c00
	global_store_dword v[5:6], v0, off
	v_and_or_b32 v16, 0xffe, v16, v3
	v_cndmask_b32_e32 v13, v13, v11, vcc_lo
	v_sub_nc_u32_e32 v3, 0x3f1, v18
	v_cmp_gt_i32_e32 vcc_lo, 31, v17
	v_add_nc_u32_e32 v18, 0xfffffc10, v18
	v_or_b32_e32 v22, 0x1000, v16
	v_and_b32_e32 v11, 7, v13
	v_med3_i32 v3, v3, 0, 13
	v_cndmask_b32_e32 v23, 0x7c00, v12, vcc_lo
	v_lshrrev_b32_e32 v13, 2, v13
	v_cvt_f32_f16_e32 v12, v21
	v_cmp_lt_i32_e32 vcc_lo, 5, v11
	v_cmp_eq_u32_e64 s0, 3, v11
	v_lshrrev_b32_e32 v21, v3, v22
	v_mul_f64 v[9:10], v[9:10], s[30:31]
	v_cvt_f64_f32_e32 v[11:12], v12
	v_cndmask_b32_e64 v15, v23, v15, s1
	s_or_b32 vcc_lo, s0, vcc_lo
	v_lshlrev_b32_e32 v3, v3, v21
	v_add_co_ci_u32_e32 v13, vcc_lo, 0, v13, vcc_lo
	v_cmp_ne_u32_e32 vcc_lo, 0, v19
	v_lshrrev_b32_e32 v19, 16, v8
	v_cndmask_b32_e64 v17, 0, 1, vcc_lo
	v_cmp_ne_u32_e32 vcc_lo, v3, v22
	v_and_or_b32 v15, 0x8000, v19, v15
	v_lshrrev_b32_e32 v22, 16, v1
	v_cndmask_b32_e64 v3, 0, 1, vcc_lo
	v_cmp_gt_i32_e32 vcc_lo, 31, v14
	v_and_b32_e32 v15, 0xffff, v15
	v_or_b32_e32 v3, v21, v3
	v_cndmask_b32_e32 v8, 0x7c00, v13, vcc_lo
	v_lshl_or_b32 v13, v17, 9, 0x7c00
	v_cmp_eq_u32_e32 vcc_lo, 0x40f, v14
	v_and_or_b32 v17, 0x1ff, v10, v9
	v_lshl_or_b32 v21, v18, 12, v16
	v_bfe_u32 v14, v10, 20, 11
	v_cndmask_b32_e32 v13, v8, v13, vcc_lo
	v_cmp_gt_i32_e32 vcc_lo, 1, v18
	v_mul_f64 v[8:9], v[11:12], s[30:31]
	v_lshrrev_b32_e32 v12, 8, v10
	v_lshrrev_b32_e32 v10, 16, v10
	v_and_or_b32 v7, 0x8000, v7, v13
	v_cndmask_b32_e32 v3, v21, v3, vcc_lo
	v_cmp_ne_u32_e32 vcc_lo, 0, v17
	v_lshl_or_b32 v0, v7, 16, v15
	v_and_b32_e32 v17, 7, v3
	v_cndmask_b32_e64 v11, 0, 1, vcc_lo
	v_cmp_lt_i32_e32 vcc_lo, 5, v17
	v_and_or_b32 v11, 0xffe, v12, v11
	v_sub_nc_u32_e32 v12, 0x3f1, v14
	v_cmp_eq_u32_e64 s0, 3, v17
	v_lshrrev_b32_e32 v17, 2, v3
	v_cvt_f64_f32_e32 v[2:3], v2
	v_or_b32_e32 v13, 0x1000, v11
	v_med3_i32 v12, v12, 0, 13
	s_or_b32 vcc_lo, s0, vcc_lo
	v_and_or_b32 v8, 0x1ff, v9, v8
	v_add_co_ci_u32_e32 v17, vcc_lo, 0, v17, vcc_lo
	v_lshrrev_b32_e32 v19, v12, v13
	v_cmp_gt_i32_e32 vcc_lo, 31, v18
	v_lshlrev_b32_e32 v12, v12, v19
	v_cndmask_b32_e32 v15, 0x7c00, v17, vcc_lo
	v_cmp_ne_u32_e32 vcc_lo, 0, v8
	v_lshrrev_b32_e32 v8, 8, v9
	v_bfe_u32 v17, v9, 20, 11
	v_cndmask_b32_e64 v7, 0, 1, vcc_lo
	v_cmp_ne_u32_e32 vcc_lo, v12, v13
	v_add_nc_u32_e32 v13, 0xfffffc10, v14
	v_and_or_b32 v14, 0xffe, v8, v7
	v_cndmask_b32_e64 v12, 0, 1, vcc_lo
	v_cmp_ne_u32_e32 vcc_lo, 0, v16
	v_sub_nc_u32_e32 v7, 0x3f1, v17
	v_lshl_or_b32 v21, v13, 12, v11
	v_add_nc_u32_e32 v17, 0xfffffc10, v17
	v_or_b32_e32 v12, v19, v12
	v_cndmask_b32_e64 v16, 0, 1, vcc_lo
	v_cmp_gt_i32_e32 vcc_lo, 1, v13
	v_or_b32_e32 v19, 0x1000, v14
	v_med3_i32 v20, v7, 0, 13
	v_mul_f64 v[7:8], v[2:3], s[30:31]
	v_lshl_or_b32 v16, v16, 9, 0x7c00
	v_cndmask_b32_e32 v12, v21, v12, vcc_lo
	v_mul_f16_sdwa v21, v49, v22 dst_sel:DWORD dst_unused:UNUSED_PAD src0_sel:WORD_1 src1_sel:DWORD
	v_lshrrev_b32_e32 v23, v20, v19
	v_mad_u64_u32 v[2:3], null, 0xfffffb5c, s28, v[5:6]
	v_and_b32_e32 v6, 7, v12
	v_cmp_eq_u32_e32 vcc_lo, 0x40f, v18
	v_lshlrev_b32_e32 v5, v20, v23
	v_fmac_f16_e32 v21, v49, v1
	v_lshrrev_b32_e32 v12, 2, v12
	v_cmp_eq_u32_e64 s0, 3, v6
	v_cndmask_b32_e32 v15, v15, v16, vcc_lo
	v_cmp_lt_i32_e32 vcc_lo, 5, v6
	v_cmp_ne_u32_e64 s1, v5, v19
	v_lshrrev_b32_e32 v16, 16, v4
	v_cvt_f32_f16_e32 v4, v21
	v_lshl_or_b32 v18, v17, 12, v14
	s_or_b32 vcc_lo, s0, vcc_lo
	v_cndmask_b32_e64 v6, 0, 1, s1
	v_add_co_ci_u32_e32 v12, vcc_lo, 0, v12, vcc_lo
	v_cmp_ne_u32_e32 vcc_lo, 0, v11
	v_cvt_f64_f32_e32 v[4:5], v4
	v_and_or_b32 v7, 0x1ff, v8, v7
	v_or_b32_e32 v6, v23, v6
	v_bfe_u32 v19, v8, 20, 11
	v_cndmask_b32_e64 v11, 0, 1, vcc_lo
	v_cmp_gt_i32_e32 vcc_lo, 1, v17
	v_mul_f16_sdwa v1, v49, v1 dst_sel:DWORD dst_unused:UNUSED_PAD src0_sel:WORD_1 src1_sel:DWORD
	v_add_nc_u32_e32 v3, s29, v3
	v_lshl_or_b32 v11, v11, 9, 0x7c00
	v_cndmask_b32_e32 v6, v18, v6, vcc_lo
	v_cmp_ne_u32_e32 vcc_lo, 0, v7
	v_lshrrev_b32_e32 v18, 8, v8
	v_fma_f16 v1, v49, v22, -v1
	v_lshrrev_b32_e32 v8, 16, v8
	v_and_b32_e32 v20, 7, v6
	v_cndmask_b32_e64 v7, 0, 1, vcc_lo
	v_cmp_gt_i32_e32 vcc_lo, 31, v13
	v_lshrrev_b32_e32 v6, 2, v6
	v_cvt_f32_f16_e32 v1, v1
	v_cmp_eq_u32_e64 s0, 3, v20
	v_and_or_b32 v18, 0xffe, v18, v7
	v_cndmask_b32_e32 v12, 0x7c00, v12, vcc_lo
	v_sub_nc_u32_e32 v7, 0x3f1, v19
	v_cmp_eq_u32_e32 vcc_lo, 0x40f, v13
	v_mul_f64 v[4:5], v[4:5], s[30:31]
	v_and_or_b32 v13, 0x8000, v16, v15
	ds_read_b32 v15, v63 offset:1512
	v_med3_i32 v7, v7, 0, 13
	v_cndmask_b32_e32 v11, v12, v11, vcc_lo
	v_or_b32_e32 v12, 0x1000, v18
	v_cmp_lt_i32_e32 vcc_lo, 5, v20
	v_and_b32_e32 v13, 0xffff, v13
	v_add_nc_u32_e32 v19, 0xfffffc10, v19
	v_and_or_b32 v10, 0x8000, v10, v11
	v_lshrrev_b32_e32 v11, v7, v12
	s_or_b32 vcc_lo, s0, vcc_lo
	v_add_co_ci_u32_e32 v6, vcc_lo, 0, v6, vcc_lo
	v_lshlrev_b32_e32 v7, v7, v11
	v_cmp_ne_u32_e32 vcc_lo, 0, v14
	v_lshl_or_b32 v16, v10, 16, v13
	v_cndmask_b32_e64 v14, 0, 1, vcc_lo
	v_cmp_ne_u32_e32 vcc_lo, v7, v12
	v_and_or_b32 v4, 0x1ff, v5, v4
	v_lshrrev_b32_e32 v13, 8, v5
	v_bfe_u32 v20, v5, 20, 11
	v_lshrrev_b32_e32 v5, 16, v5
	v_cndmask_b32_e64 v10, 0, 1, vcc_lo
	v_cmp_gt_i32_e32 vcc_lo, 31, v17
	v_or_b32_e32 v10, v11, v10
	v_cndmask_b32_e32 v12, 0x7c00, v6, vcc_lo
	v_cmp_ne_u32_e32 vcc_lo, 0, v4
	v_cvt_f64_f32_e32 v[6:7], v1
	v_lshl_or_b32 v11, v19, 12, v18
	s_waitcnt lgkmcnt(0)
	v_lshrrev_b32_e32 v4, 16, v15
	v_cndmask_b32_e64 v1, 0, 1, vcc_lo
	v_cmp_gt_i32_e32 vcc_lo, 1, v19
	v_mul_f16_sdwa v21, v48, v4 dst_sel:DWORD dst_unused:UNUSED_PAD src0_sel:WORD_1 src1_sel:DWORD
	v_and_or_b32 v1, 0xffe, v13, v1
	v_sub_nc_u32_e32 v13, 0x3f1, v20
	v_cndmask_b32_e32 v22, v11, v10, vcc_lo
	v_lshl_or_b32 v10, v14, 9, 0x7c00
	v_cmp_eq_u32_e32 vcc_lo, 0x40f, v17
	v_or_b32_e32 v14, 0x1000, v1
	v_med3_i32 v13, v13, 0, 13
	v_and_b32_e32 v23, 7, v22
	v_fmac_f16_e32 v21, v48, v15
	v_cndmask_b32_e32 v17, v12, v10, vcc_lo
	v_mul_f16_sdwa v15, v48, v15 dst_sel:DWORD dst_unused:UNUSED_PAD src0_sel:WORD_1 src1_sel:DWORD
	v_lshrrev_b32_e32 v12, v13, v14
	v_cmp_lt_i32_e32 vcc_lo, 5, v23
	v_cmp_eq_u32_e64 s0, 3, v23
	v_cvt_f32_f16_e32 v11, v21
	v_lshrrev_b32_e32 v21, 16, v9
	v_lshrrev_b32_e32 v9, 2, v22
	v_lshlrev_b32_e32 v13, v13, v12
	s_or_b32 vcc_lo, s0, vcc_lo
	v_cvt_f64_f32_e32 v[10:11], v11
	v_mul_f64 v[6:7], v[6:7], s[30:31]
	v_add_co_ci_u32_e32 v9, vcc_lo, 0, v9, vcc_lo
	v_cmp_ne_u32_e32 vcc_lo, v13, v14
	v_fma_f16 v4, v48, v4, -v15
	v_add_nc_u32_e32 v20, 0xfffffc10, v20
	v_and_or_b32 v17, 0x8000, v21, v17
	v_cndmask_b32_e64 v13, 0, 1, vcc_lo
	v_cmp_ne_u32_e32 vcc_lo, 0, v18
	v_cvt_f32_f16_e32 v4, v4
	v_lshl_or_b32 v22, v20, 12, v1
	v_and_b32_e32 v17, 0xffff, v17
	v_or_b32_e32 v18, v12, v13
	v_cndmask_b32_e64 v14, 0, 1, vcc_lo
	v_cmp_gt_i32_e32 vcc_lo, 31, v19
	v_cvt_f64_f32_e32 v[12:13], v4
	v_lshl_or_b32 v23, v14, 9, 0x7c00
	v_cndmask_b32_e32 v4, 0x7c00, v9, vcc_lo
	v_add_co_u32 v14, vcc_lo, v2, s27
	v_add_co_ci_u32_e32 v15, vcc_lo, s33, v3, vcc_lo
	v_cmp_gt_i32_e32 vcc_lo, 1, v20
	v_mul_f64 v[9:10], v[10:11], s[30:31]
	v_and_or_b32 v6, 0x1ff, v7, v6
	v_lshrrev_b32_e32 v11, 8, v7
	v_cndmask_b32_e32 v18, v22, v18, vcc_lo
	v_cmp_eq_u32_e32 vcc_lo, 0x40f, v19
	v_bfe_u32 v19, v7, 20, 11
	v_lshrrev_b32_e32 v7, 16, v7
	v_and_b32_e32 v22, 7, v18
	v_cndmask_b32_e32 v4, v4, v23, vcc_lo
	v_cmp_ne_u32_e32 vcc_lo, 0, v6
	v_sub_nc_u32_e32 v21, 0x3f1, v19
	v_lshrrev_b32_e32 v18, 2, v18
	v_cmp_eq_u32_e64 s0, 3, v22
	v_and_or_b32 v4, 0x8000, v8, v4
	v_cndmask_b32_e64 v6, 0, 1, vcc_lo
	v_cmp_lt_i32_e32 vcc_lo, 5, v22
	v_and_or_b32 v6, 0xffe, v11, v6
	v_mul_f64 v[11:12], v[12:13], s[30:31]
	v_med3_i32 v13, v21, 0, 13
	v_and_or_b32 v9, 0x1ff, v10, v9
	s_or_b32 vcc_lo, s0, vcc_lo
	v_or_b32_e32 v8, 0x1000, v6
	v_add_co_ci_u32_e32 v18, vcc_lo, 0, v18, vcc_lo
	v_cmp_ne_u32_e32 vcc_lo, 0, v9
	v_lshrrev_b32_e32 v22, 8, v10
	v_lshrrev_b32_e32 v21, v13, v8
	v_bfe_u32 v23, v10, 20, 11
	v_cndmask_b32_e64 v9, 0, 1, vcc_lo
	v_cmp_ne_u32_e32 vcc_lo, 0, v1
	v_lshlrev_b32_e32 v13, v13, v21
	v_and_or_b32 v9, 0xffe, v22, v9
	v_cndmask_b32_e64 v1, 0, 1, vcc_lo
	v_cmp_ne_u32_e32 vcc_lo, v13, v8
	v_sub_nc_u32_e32 v22, 0x3f1, v23
	v_add_nc_u32_e32 v13, 0xfffffc10, v19
	v_and_or_b32 v11, 0x1ff, v12, v11
	v_or_b32_e32 v19, 0x1000, v9
	v_cndmask_b32_e64 v8, 0, 1, vcc_lo
	v_cmp_gt_i32_e32 vcc_lo, 31, v20
	v_med3_i32 v22, v22, 0, 13
	v_lshrrev_b32_e32 v24, 8, v12
	v_bfe_u32 v25, v12, 20, 11
	v_or_b32_e32 v8, v21, v8
	v_cndmask_b32_e32 v18, 0x7c00, v18, vcc_lo
	v_cmp_ne_u32_e32 vcc_lo, 0, v11
	v_lshl_or_b32 v21, v13, 12, v6
	v_lshrrev_b32_e32 v26, v22, v19
	v_lshl_or_b32 v1, v1, 9, 0x7c00
	v_cndmask_b32_e64 v11, 0, 1, vcc_lo
	v_cmp_gt_i32_e32 vcc_lo, 1, v13
	v_and_or_b32 v11, 0xffe, v24, v11
	v_sub_nc_u32_e32 v24, 0x3f1, v25
	v_cndmask_b32_e32 v8, v21, v8, vcc_lo
	v_lshlrev_b32_e32 v21, v22, v26
	v_cmp_eq_u32_e32 vcc_lo, 0x40f, v20
	v_or_b32_e32 v22, 0x1000, v11
	v_med3_i32 v24, v24, 0, 13
	v_and_b32_e32 v27, 7, v8
	v_lshrrev_b32_e32 v8, 2, v8
	v_cndmask_b32_e32 v1, v18, v1, vcc_lo
	v_cmp_ne_u32_e32 vcc_lo, v21, v19
	v_add_nc_u32_e32 v19, 0xfffffc10, v23
	v_lshrrev_b32_e32 v20, v24, v22
	v_cmp_eq_u32_e64 s0, 3, v27
	v_and_or_b32 v1, 0x8000, v5, v1
	v_cndmask_b32_e64 v18, 0, 1, vcc_lo
	v_lshl_or_b32 v21, v19, 12, v9
	v_lshlrev_b32_e32 v23, v24, v20
	v_cmp_gt_i32_e64 s1, 1, v19
	v_cmp_lt_i32_e32 vcc_lo, 5, v27
	v_or_b32_e32 v18, v26, v18
	v_and_b32_e32 v1, 0xffff, v1
	s_or_b32 vcc_lo, s0, vcc_lo
	v_cndmask_b32_e64 v18, v21, v18, s1
	v_cmp_ne_u32_e64 s1, v23, v22
	v_add_nc_u32_e32 v22, 0xfffffc10, v25
	v_add_co_ci_u32_e32 v8, vcc_lo, 0, v8, vcc_lo
	v_and_b32_e32 v23, 7, v18
	v_cndmask_b32_e64 v21, 0, 1, s1
	v_cmp_ne_u32_e32 vcc_lo, 0, v6
	v_cmp_gt_i32_e64 s0, 1, v22
	v_lshrrev_b32_e32 v18, 2, v18
	v_cmp_gt_i32_e64 s1, 31, v13
	v_or_b32_e32 v20, v20, v21
	v_lshl_or_b32 v21, v22, 12, v11
	v_cndmask_b32_e64 v6, 0, 1, vcc_lo
	v_cmp_lt_i32_e32 vcc_lo, 5, v23
	v_cndmask_b32_e64 v8, 0x7c00, v8, s1
	v_cmp_eq_u32_e64 s1, 0x40f, v13
	v_cndmask_b32_e64 v5, v21, v20, s0
	v_cmp_eq_u32_e64 s0, 3, v23
	v_lshl_or_b32 v6, v6, 9, 0x7c00
	v_and_b32_e32 v20, 7, v5
	s_or_b32 vcc_lo, s0, vcc_lo
	v_lshrrev_b32_e32 v5, 2, v5
	v_add_co_ci_u32_e32 v18, vcc_lo, 0, v18, vcc_lo
	v_cmp_ne_u32_e32 vcc_lo, 0, v9
	v_cmp_eq_u32_e64 s0, 3, v20
	v_cndmask_b32_e64 v6, v8, v6, s1
	v_cmp_gt_i32_e64 s1, 31, v19
	v_cndmask_b32_e64 v9, 0, 1, vcc_lo
	v_cmp_lt_i32_e32 vcc_lo, 5, v20
	v_and_or_b32 v6, 0x8000, v7, v6
	v_cndmask_b32_e64 v8, 0x7c00, v18, s1
	v_lshl_or_b32 v9, v9, 9, 0x7c00
	s_or_b32 vcc_lo, s0, vcc_lo
	v_lshl_or_b32 v1, v6, 16, v1
	v_add_co_ci_u32_e32 v5, vcc_lo, 0, v5, vcc_lo
	v_cmp_ne_u32_e32 vcc_lo, 0, v11
	v_cndmask_b32_e64 v11, 0, 1, vcc_lo
	v_cmp_eq_u32_e32 vcc_lo, 0x40f, v19
	v_cndmask_b32_e32 v8, v8, v9, vcc_lo
	v_cmp_gt_i32_e32 vcc_lo, 31, v22
	v_lshrrev_b32_e32 v9, 16, v10
	v_lshl_or_b32 v10, v11, 9, 0x7c00
	v_lshl_or_b32 v11, v4, 16, v17
	v_cndmask_b32_e32 v5, 0x7c00, v5, vcc_lo
	v_cmp_eq_u32_e32 vcc_lo, 0x40f, v22
	v_and_or_b32 v7, 0x8000, v9, v8
	v_lshrrev_b32_e32 v9, 16, v12
	v_cndmask_b32_e32 v8, v5, v10, vcc_lo
	v_add_co_u32 v4, vcc_lo, v14, s27
	v_add_co_ci_u32_e32 v5, vcc_lo, s33, v15, vcc_lo
	v_and_or_b32 v8, 0x8000, v9, v8
	v_and_b32_e32 v9, 0xffff, v7
	v_add_co_u32 v6, vcc_lo, v4, s27
	v_add_co_ci_u32_e32 v7, vcc_lo, s33, v5, vcc_lo
	v_lshl_or_b32 v10, v8, 16, v9
	v_add_co_u32 v8, vcc_lo, v6, s27
	v_add_co_ci_u32_e32 v9, vcc_lo, s33, v7, vcc_lo
	global_store_dword v[2:3], v0, off
	global_store_dword v[14:15], v16, off
	;; [unrolled: 1-line block ×5, first 2 shown]
.LBB0_2:
	s_endpgm
	.section	.rodata,"a",@progbits
	.p2align	6, 0x0
	.amdhsa_kernel bluestein_single_back_len405_dim1_half_op_CI_CI
		.amdhsa_group_segment_fixed_size 6480
		.amdhsa_private_segment_fixed_size 0
		.amdhsa_kernarg_size 104
		.amdhsa_user_sgpr_count 6
		.amdhsa_user_sgpr_private_segment_buffer 1
		.amdhsa_user_sgpr_dispatch_ptr 0
		.amdhsa_user_sgpr_queue_ptr 0
		.amdhsa_user_sgpr_kernarg_segment_ptr 1
		.amdhsa_user_sgpr_dispatch_id 0
		.amdhsa_user_sgpr_flat_scratch_init 0
		.amdhsa_user_sgpr_private_segment_size 0
		.amdhsa_wavefront_size32 1
		.amdhsa_uses_dynamic_stack 0
		.amdhsa_system_sgpr_private_segment_wavefront_offset 0
		.amdhsa_system_sgpr_workgroup_id_x 1
		.amdhsa_system_sgpr_workgroup_id_y 0
		.amdhsa_system_sgpr_workgroup_id_z 0
		.amdhsa_system_sgpr_workgroup_info 0
		.amdhsa_system_vgpr_workitem_id 0
		.amdhsa_next_free_vgpr 115
		.amdhsa_next_free_sgpr 34
		.amdhsa_reserve_vcc 1
		.amdhsa_reserve_flat_scratch 0
		.amdhsa_float_round_mode_32 0
		.amdhsa_float_round_mode_16_64 0
		.amdhsa_float_denorm_mode_32 3
		.amdhsa_float_denorm_mode_16_64 3
		.amdhsa_dx10_clamp 1
		.amdhsa_ieee_mode 1
		.amdhsa_fp16_overflow 0
		.amdhsa_workgroup_processor_mode 1
		.amdhsa_memory_ordered 1
		.amdhsa_forward_progress 0
		.amdhsa_shared_vgpr_count 0
		.amdhsa_exception_fp_ieee_invalid_op 0
		.amdhsa_exception_fp_denorm_src 0
		.amdhsa_exception_fp_ieee_div_zero 0
		.amdhsa_exception_fp_ieee_overflow 0
		.amdhsa_exception_fp_ieee_underflow 0
		.amdhsa_exception_fp_ieee_inexact 0
		.amdhsa_exception_int_div_zero 0
	.end_amdhsa_kernel
	.text
.Lfunc_end0:
	.size	bluestein_single_back_len405_dim1_half_op_CI_CI, .Lfunc_end0-bluestein_single_back_len405_dim1_half_op_CI_CI
                                        ; -- End function
	.section	.AMDGPU.csdata,"",@progbits
; Kernel info:
; codeLenInByte = 22576
; NumSgprs: 36
; NumVgprs: 115
; ScratchSize: 0
; MemoryBound: 0
; FloatMode: 240
; IeeeMode: 1
; LDSByteSize: 6480 bytes/workgroup (compile time only)
; SGPRBlocks: 4
; VGPRBlocks: 14
; NumSGPRsForWavesPerEU: 36
; NumVGPRsForWavesPerEU: 115
; Occupancy: 8
; WaveLimiterHint : 1
; COMPUTE_PGM_RSRC2:SCRATCH_EN: 0
; COMPUTE_PGM_RSRC2:USER_SGPR: 6
; COMPUTE_PGM_RSRC2:TRAP_HANDLER: 0
; COMPUTE_PGM_RSRC2:TGID_X_EN: 1
; COMPUTE_PGM_RSRC2:TGID_Y_EN: 0
; COMPUTE_PGM_RSRC2:TGID_Z_EN: 0
; COMPUTE_PGM_RSRC2:TIDIG_COMP_CNT: 0
	.text
	.p2alignl 6, 3214868480
	.fill 48, 4, 3214868480
	.type	__hip_cuid_af3a6991b0580537,@object ; @__hip_cuid_af3a6991b0580537
	.section	.bss,"aw",@nobits
	.globl	__hip_cuid_af3a6991b0580537
__hip_cuid_af3a6991b0580537:
	.byte	0                               ; 0x0
	.size	__hip_cuid_af3a6991b0580537, 1

	.ident	"AMD clang version 19.0.0git (https://github.com/RadeonOpenCompute/llvm-project roc-6.4.0 25133 c7fe45cf4b819c5991fe208aaa96edf142730f1d)"
	.section	".note.GNU-stack","",@progbits
	.addrsig
	.addrsig_sym __hip_cuid_af3a6991b0580537
	.amdgpu_metadata
---
amdhsa.kernels:
  - .args:
      - .actual_access:  read_only
        .address_space:  global
        .offset:         0
        .size:           8
        .value_kind:     global_buffer
      - .actual_access:  read_only
        .address_space:  global
        .offset:         8
        .size:           8
        .value_kind:     global_buffer
      - .actual_access:  read_only
        .address_space:  global
        .offset:         16
        .size:           8
        .value_kind:     global_buffer
      - .actual_access:  read_only
        .address_space:  global
        .offset:         24
        .size:           8
        .value_kind:     global_buffer
      - .actual_access:  read_only
        .address_space:  global
        .offset:         32
        .size:           8
        .value_kind:     global_buffer
      - .offset:         40
        .size:           8
        .value_kind:     by_value
      - .address_space:  global
        .offset:         48
        .size:           8
        .value_kind:     global_buffer
      - .address_space:  global
        .offset:         56
        .size:           8
        .value_kind:     global_buffer
      - .address_space:  global
        .offset:         64
        .size:           8
        .value_kind:     global_buffer
      - .address_space:  global
        .offset:         72
        .size:           8
        .value_kind:     global_buffer
      - .offset:         80
        .size:           4
        .value_kind:     by_value
      - .address_space:  global
        .offset:         88
        .size:           8
        .value_kind:     global_buffer
      - .address_space:  global
        .offset:         96
        .size:           8
        .value_kind:     global_buffer
    .group_segment_fixed_size: 6480
    .kernarg_segment_align: 8
    .kernarg_segment_size: 104
    .language:       OpenCL C
    .language_version:
      - 2
      - 0
    .max_flat_workgroup_size: 108
    .name:           bluestein_single_back_len405_dim1_half_op_CI_CI
    .private_segment_fixed_size: 0
    .sgpr_count:     36
    .sgpr_spill_count: 0
    .symbol:         bluestein_single_back_len405_dim1_half_op_CI_CI.kd
    .uniform_work_group_size: 1
    .uses_dynamic_stack: false
    .vgpr_count:     115
    .vgpr_spill_count: 0
    .wavefront_size: 32
    .workgroup_processor_mode: 1
amdhsa.target:   amdgcn-amd-amdhsa--gfx1030
amdhsa.version:
  - 1
  - 2
...

	.end_amdgpu_metadata
